;; amdgpu-corpus repo=ROCm/rocFFT kind=compiled arch=gfx1201 opt=O3
	.text
	.amdgcn_target "amdgcn-amd-amdhsa--gfx1201"
	.amdhsa_code_object_version 6
	.protected	fft_rtc_back_len2160_factors_10_6_6_6_wgs_60_tpt_60_halfLds_sp_op_CI_CI_unitstride_sbrr_C2R_dirReg ; -- Begin function fft_rtc_back_len2160_factors_10_6_6_6_wgs_60_tpt_60_halfLds_sp_op_CI_CI_unitstride_sbrr_C2R_dirReg
	.globl	fft_rtc_back_len2160_factors_10_6_6_6_wgs_60_tpt_60_halfLds_sp_op_CI_CI_unitstride_sbrr_C2R_dirReg
	.p2align	8
	.type	fft_rtc_back_len2160_factors_10_6_6_6_wgs_60_tpt_60_halfLds_sp_op_CI_CI_unitstride_sbrr_C2R_dirReg,@function
fft_rtc_back_len2160_factors_10_6_6_6_wgs_60_tpt_60_halfLds_sp_op_CI_CI_unitstride_sbrr_C2R_dirReg: ; @fft_rtc_back_len2160_factors_10_6_6_6_wgs_60_tpt_60_halfLds_sp_op_CI_CI_unitstride_sbrr_C2R_dirReg
; %bb.0:
	s_clause 0x2
	s_load_b128 s[8:11], s[0:1], 0x0
	s_load_b128 s[4:7], s[0:1], 0x58
	;; [unrolled: 1-line block ×3, first 2 shown]
	v_mul_u32_u24_e32 v1, 0x445, v0
	v_mov_b32_e32 v3, 0
	s_delay_alu instid0(VALU_DEP_2) | instskip(NEXT) | instid1(VALU_DEP_1)
	v_lshrrev_b32_e32 v1, 16, v1
	v_add_nc_u32_e32 v5, ttmp9, v1
	v_mov_b32_e32 v1, 0
	v_mov_b32_e32 v2, 0
	;; [unrolled: 1-line block ×3, first 2 shown]
	s_wait_kmcnt 0x0
	v_cmp_lt_u64_e64 s2, s[10:11], 2
	s_delay_alu instid0(VALU_DEP_1)
	s_and_b32 vcc_lo, exec_lo, s2
	s_cbranch_vccnz .LBB0_8
; %bb.1:
	s_load_b64 s[2:3], s[0:1], 0x10
	v_mov_b32_e32 v1, 0
	v_mov_b32_e32 v2, 0
	s_add_nc_u64 s[16:17], s[14:15], 8
	s_add_nc_u64 s[18:19], s[12:13], 8
	s_mov_b64 s[20:21], 1
	s_delay_alu instid0(VALU_DEP_1)
	v_dual_mov_b32 v59, v2 :: v_dual_mov_b32 v58, v1
	s_wait_kmcnt 0x0
	s_add_nc_u64 s[22:23], s[2:3], 8
	s_mov_b32 s3, 0
.LBB0_2:                                ; =>This Inner Loop Header: Depth=1
	s_load_b64 s[24:25], s[22:23], 0x0
                                        ; implicit-def: $vgpr60_vgpr61
	s_mov_b32 s2, exec_lo
	s_wait_kmcnt 0x0
	v_or_b32_e32 v4, s25, v6
	s_delay_alu instid0(VALU_DEP_1)
	v_cmpx_ne_u64_e32 0, v[3:4]
	s_wait_alu 0xfffe
	s_xor_b32 s26, exec_lo, s2
	s_cbranch_execz .LBB0_4
; %bb.3:                                ;   in Loop: Header=BB0_2 Depth=1
	s_cvt_f32_u32 s2, s24
	s_cvt_f32_u32 s27, s25
	s_sub_nc_u64 s[30:31], 0, s[24:25]
	s_wait_alu 0xfffe
	s_delay_alu instid0(SALU_CYCLE_1) | instskip(SKIP_1) | instid1(SALU_CYCLE_2)
	s_fmamk_f32 s2, s27, 0x4f800000, s2
	s_wait_alu 0xfffe
	v_s_rcp_f32 s2, s2
	s_delay_alu instid0(TRANS32_DEP_1) | instskip(SKIP_1) | instid1(SALU_CYCLE_2)
	s_mul_f32 s2, s2, 0x5f7ffffc
	s_wait_alu 0xfffe
	s_mul_f32 s27, s2, 0x2f800000
	s_wait_alu 0xfffe
	s_delay_alu instid0(SALU_CYCLE_2) | instskip(SKIP_1) | instid1(SALU_CYCLE_2)
	s_trunc_f32 s27, s27
	s_wait_alu 0xfffe
	s_fmamk_f32 s2, s27, 0xcf800000, s2
	s_cvt_u32_f32 s29, s27
	s_wait_alu 0xfffe
	s_delay_alu instid0(SALU_CYCLE_1) | instskip(SKIP_1) | instid1(SALU_CYCLE_2)
	s_cvt_u32_f32 s28, s2
	s_wait_alu 0xfffe
	s_mul_u64 s[34:35], s[30:31], s[28:29]
	s_wait_alu 0xfffe
	s_mul_hi_u32 s37, s28, s35
	s_mul_i32 s36, s28, s35
	s_mul_hi_u32 s2, s28, s34
	s_mul_i32 s33, s29, s34
	s_wait_alu 0xfffe
	s_add_nc_u64 s[36:37], s[2:3], s[36:37]
	s_mul_hi_u32 s27, s29, s34
	s_mul_hi_u32 s38, s29, s35
	s_add_co_u32 s2, s36, s33
	s_wait_alu 0xfffe
	s_add_co_ci_u32 s2, s37, s27
	s_mul_i32 s34, s29, s35
	s_add_co_ci_u32 s35, s38, 0
	s_wait_alu 0xfffe
	s_add_nc_u64 s[34:35], s[2:3], s[34:35]
	s_wait_alu 0xfffe
	v_add_co_u32 v4, s2, s28, s34
	s_delay_alu instid0(VALU_DEP_1) | instskip(SKIP_1) | instid1(VALU_DEP_1)
	s_cmp_lg_u32 s2, 0
	s_add_co_ci_u32 s29, s29, s35
	v_readfirstlane_b32 s28, v4
	s_wait_alu 0xfffe
	s_delay_alu instid0(VALU_DEP_1)
	s_mul_u64 s[30:31], s[30:31], s[28:29]
	s_wait_alu 0xfffe
	s_mul_hi_u32 s35, s28, s31
	s_mul_i32 s34, s28, s31
	s_mul_hi_u32 s2, s28, s30
	s_mul_i32 s33, s29, s30
	s_wait_alu 0xfffe
	s_add_nc_u64 s[34:35], s[2:3], s[34:35]
	s_mul_hi_u32 s27, s29, s30
	s_mul_hi_u32 s28, s29, s31
	s_wait_alu 0xfffe
	s_add_co_u32 s2, s34, s33
	s_add_co_ci_u32 s2, s35, s27
	s_mul_i32 s30, s29, s31
	s_add_co_ci_u32 s31, s28, 0
	s_wait_alu 0xfffe
	s_add_nc_u64 s[30:31], s[2:3], s[30:31]
	s_wait_alu 0xfffe
	v_add_co_u32 v4, s2, v4, s30
	s_delay_alu instid0(VALU_DEP_1) | instskip(SKIP_1) | instid1(VALU_DEP_1)
	s_cmp_lg_u32 s2, 0
	s_add_co_ci_u32 s2, s29, s31
	v_mul_hi_u32 v13, v5, v4
	s_wait_alu 0xfffe
	v_mad_co_u64_u32 v[7:8], null, v5, s2, 0
	v_mad_co_u64_u32 v[9:10], null, v6, v4, 0
	;; [unrolled: 1-line block ×3, first 2 shown]
	s_delay_alu instid0(VALU_DEP_3) | instskip(SKIP_1) | instid1(VALU_DEP_4)
	v_add_co_u32 v4, vcc_lo, v13, v7
	s_wait_alu 0xfffd
	v_add_co_ci_u32_e32 v7, vcc_lo, 0, v8, vcc_lo
	s_delay_alu instid0(VALU_DEP_2) | instskip(SKIP_1) | instid1(VALU_DEP_2)
	v_add_co_u32 v4, vcc_lo, v4, v9
	s_wait_alu 0xfffd
	v_add_co_ci_u32_e32 v4, vcc_lo, v7, v10, vcc_lo
	s_wait_alu 0xfffd
	v_add_co_ci_u32_e32 v7, vcc_lo, 0, v12, vcc_lo
	s_delay_alu instid0(VALU_DEP_2) | instskip(SKIP_1) | instid1(VALU_DEP_2)
	v_add_co_u32 v4, vcc_lo, v4, v11
	s_wait_alu 0xfffd
	v_add_co_ci_u32_e32 v9, vcc_lo, 0, v7, vcc_lo
	s_delay_alu instid0(VALU_DEP_2) | instskip(SKIP_1) | instid1(VALU_DEP_3)
	v_mul_lo_u32 v10, s25, v4
	v_mad_co_u64_u32 v[7:8], null, s24, v4, 0
	v_mul_lo_u32 v11, s24, v9
	s_delay_alu instid0(VALU_DEP_2) | instskip(NEXT) | instid1(VALU_DEP_2)
	v_sub_co_u32 v7, vcc_lo, v5, v7
	v_add3_u32 v8, v8, v11, v10
	s_delay_alu instid0(VALU_DEP_1) | instskip(SKIP_1) | instid1(VALU_DEP_1)
	v_sub_nc_u32_e32 v10, v6, v8
	s_wait_alu 0xfffd
	v_subrev_co_ci_u32_e64 v10, s2, s25, v10, vcc_lo
	v_add_co_u32 v11, s2, v4, 2
	s_wait_alu 0xf1ff
	v_add_co_ci_u32_e64 v12, s2, 0, v9, s2
	v_sub_co_u32 v13, s2, v7, s24
	v_sub_co_ci_u32_e32 v8, vcc_lo, v6, v8, vcc_lo
	s_wait_alu 0xf1ff
	v_subrev_co_ci_u32_e64 v10, s2, 0, v10, s2
	s_delay_alu instid0(VALU_DEP_3) | instskip(NEXT) | instid1(VALU_DEP_3)
	v_cmp_le_u32_e32 vcc_lo, s24, v13
	v_cmp_eq_u32_e64 s2, s25, v8
	s_wait_alu 0xfffd
	v_cndmask_b32_e64 v13, 0, -1, vcc_lo
	v_cmp_le_u32_e32 vcc_lo, s25, v10
	s_wait_alu 0xfffd
	v_cndmask_b32_e64 v14, 0, -1, vcc_lo
	v_cmp_le_u32_e32 vcc_lo, s24, v7
	;; [unrolled: 3-line block ×3, first 2 shown]
	s_wait_alu 0xfffd
	v_cndmask_b32_e64 v15, 0, -1, vcc_lo
	v_cmp_eq_u32_e32 vcc_lo, s25, v10
	s_wait_alu 0xf1ff
	s_delay_alu instid0(VALU_DEP_2)
	v_cndmask_b32_e64 v7, v15, v7, s2
	s_wait_alu 0xfffd
	v_cndmask_b32_e32 v10, v14, v13, vcc_lo
	v_add_co_u32 v13, vcc_lo, v4, 1
	s_wait_alu 0xfffd
	v_add_co_ci_u32_e32 v14, vcc_lo, 0, v9, vcc_lo
	s_delay_alu instid0(VALU_DEP_3) | instskip(SKIP_1) | instid1(VALU_DEP_2)
	v_cmp_ne_u32_e32 vcc_lo, 0, v10
	s_wait_alu 0xfffd
	v_cndmask_b32_e32 v8, v14, v12, vcc_lo
	v_cndmask_b32_e32 v10, v13, v11, vcc_lo
	v_cmp_ne_u32_e32 vcc_lo, 0, v7
	s_wait_alu 0xfffd
	s_delay_alu instid0(VALU_DEP_2)
	v_dual_cndmask_b32 v61, v9, v8 :: v_dual_cndmask_b32 v60, v4, v10
.LBB0_4:                                ;   in Loop: Header=BB0_2 Depth=1
	s_wait_alu 0xfffe
	s_and_not1_saveexec_b32 s2, s26
	s_cbranch_execz .LBB0_6
; %bb.5:                                ;   in Loop: Header=BB0_2 Depth=1
	v_cvt_f32_u32_e32 v4, s24
	s_sub_co_i32 s26, 0, s24
	v_mov_b32_e32 v61, v3
	s_delay_alu instid0(VALU_DEP_2) | instskip(NEXT) | instid1(TRANS32_DEP_1)
	v_rcp_iflag_f32_e32 v4, v4
	v_mul_f32_e32 v4, 0x4f7ffffe, v4
	s_delay_alu instid0(VALU_DEP_1) | instskip(SKIP_1) | instid1(VALU_DEP_1)
	v_cvt_u32_f32_e32 v4, v4
	s_wait_alu 0xfffe
	v_mul_lo_u32 v7, s26, v4
	s_delay_alu instid0(VALU_DEP_1) | instskip(NEXT) | instid1(VALU_DEP_1)
	v_mul_hi_u32 v7, v4, v7
	v_add_nc_u32_e32 v4, v4, v7
	s_delay_alu instid0(VALU_DEP_1) | instskip(NEXT) | instid1(VALU_DEP_1)
	v_mul_hi_u32 v4, v5, v4
	v_mul_lo_u32 v7, v4, s24
	v_add_nc_u32_e32 v8, 1, v4
	s_delay_alu instid0(VALU_DEP_2) | instskip(NEXT) | instid1(VALU_DEP_1)
	v_sub_nc_u32_e32 v7, v5, v7
	v_subrev_nc_u32_e32 v9, s24, v7
	v_cmp_le_u32_e32 vcc_lo, s24, v7
	s_wait_alu 0xfffd
	s_delay_alu instid0(VALU_DEP_2) | instskip(NEXT) | instid1(VALU_DEP_1)
	v_dual_cndmask_b32 v7, v7, v9 :: v_dual_cndmask_b32 v4, v4, v8
	v_cmp_le_u32_e32 vcc_lo, s24, v7
	s_delay_alu instid0(VALU_DEP_2) | instskip(SKIP_1) | instid1(VALU_DEP_1)
	v_add_nc_u32_e32 v8, 1, v4
	s_wait_alu 0xfffd
	v_cndmask_b32_e32 v60, v4, v8, vcc_lo
.LBB0_6:                                ;   in Loop: Header=BB0_2 Depth=1
	s_wait_alu 0xfffe
	s_or_b32 exec_lo, exec_lo, s2
	v_mul_lo_u32 v4, v61, s24
	s_delay_alu instid0(VALU_DEP_2)
	v_mul_lo_u32 v9, v60, s25
	s_load_b64 s[26:27], s[18:19], 0x0
	v_mad_co_u64_u32 v[7:8], null, v60, s24, 0
	s_load_b64 s[24:25], s[16:17], 0x0
	s_add_nc_u64 s[20:21], s[20:21], 1
	s_add_nc_u64 s[16:17], s[16:17], 8
	s_wait_alu 0xfffe
	v_cmp_ge_u64_e64 s2, s[20:21], s[10:11]
	s_add_nc_u64 s[18:19], s[18:19], 8
	s_add_nc_u64 s[22:23], s[22:23], 8
	v_add3_u32 v4, v8, v9, v4
	v_sub_co_u32 v5, vcc_lo, v5, v7
	s_wait_alu 0xfffd
	s_delay_alu instid0(VALU_DEP_2) | instskip(SKIP_2) | instid1(VALU_DEP_1)
	v_sub_co_ci_u32_e32 v4, vcc_lo, v6, v4, vcc_lo
	s_and_b32 vcc_lo, exec_lo, s2
	s_wait_kmcnt 0x0
	v_mul_lo_u32 v6, s26, v4
	v_mul_lo_u32 v7, s27, v5
	v_mad_co_u64_u32 v[1:2], null, s26, v5, v[1:2]
	v_mul_lo_u32 v4, s24, v4
	v_mul_lo_u32 v8, s25, v5
	v_mad_co_u64_u32 v[58:59], null, s24, v5, v[58:59]
	s_delay_alu instid0(VALU_DEP_4) | instskip(NEXT) | instid1(VALU_DEP_2)
	v_add3_u32 v2, v7, v2, v6
	v_add3_u32 v59, v8, v59, v4
	s_wait_alu 0xfffe
	s_cbranch_vccnz .LBB0_9
; %bb.7:                                ;   in Loop: Header=BB0_2 Depth=1
	v_dual_mov_b32 v5, v60 :: v_dual_mov_b32 v6, v61
	s_branch .LBB0_2
.LBB0_8:
	v_dual_mov_b32 v59, v2 :: v_dual_mov_b32 v58, v1
	v_dual_mov_b32 v61, v6 :: v_dual_mov_b32 v60, v5
.LBB0_9:
	s_load_b64 s[0:1], s[0:1], 0x28
	v_mul_hi_u32 v3, 0x4444445, v0
	s_lshl_b64 s[10:11], s[10:11], 3
                                        ; implicit-def: $vgpr56
	s_wait_alu 0xfffe
	s_add_nc_u64 s[2:3], s[14:15], s[10:11]
	s_wait_kmcnt 0x0
	v_cmp_gt_u64_e32 vcc_lo, s[0:1], v[60:61]
	v_cmp_le_u64_e64 s0, s[0:1], v[60:61]
	s_delay_alu instid0(VALU_DEP_1)
	s_and_saveexec_b32 s1, s0
	s_wait_alu 0xfffe
	s_xor_b32 s0, exec_lo, s1
; %bb.10:
	v_mul_u32_u24_e32 v1, 60, v3
                                        ; implicit-def: $vgpr3
	s_delay_alu instid0(VALU_DEP_1)
	v_sub_nc_u32_e32 v56, v0, v1
                                        ; implicit-def: $vgpr0
                                        ; implicit-def: $vgpr1_vgpr2
; %bb.11:
	s_wait_alu 0xfffe
	s_or_saveexec_b32 s1, s0
	s_load_b64 s[2:3], s[2:3], 0x0
	s_xor_b32 exec_lo, exec_lo, s1
	s_cbranch_execz .LBB0_15
; %bb.12:
	s_add_nc_u64 s[10:11], s[12:13], s[10:11]
	v_lshlrev_b64_e32 v[1:2], 3, v[1:2]
	s_load_b64 s[10:11], s[10:11], 0x0
	s_wait_kmcnt 0x0
	v_mul_lo_u32 v6, s11, v60
	v_mul_lo_u32 v7, s10, v61
	v_mad_co_u64_u32 v[4:5], null, s10, v60, 0
	s_delay_alu instid0(VALU_DEP_1) | instskip(SKIP_1) | instid1(VALU_DEP_2)
	v_add3_u32 v5, v5, v7, v6
	v_mul_u32_u24_e32 v6, 60, v3
	v_lshlrev_b64_e32 v[3:4], 3, v[4:5]
	s_delay_alu instid0(VALU_DEP_2) | instskip(NEXT) | instid1(VALU_DEP_1)
	v_sub_nc_u32_e32 v56, v0, v6
	v_lshlrev_b32_e32 v57, 3, v56
	s_delay_alu instid0(VALU_DEP_3) | instskip(SKIP_1) | instid1(VALU_DEP_4)
	v_add_co_u32 v0, s0, s4, v3
	s_wait_alu 0xf1ff
	v_add_co_ci_u32_e64 v3, s0, s5, v4, s0
	s_delay_alu instid0(VALU_DEP_2) | instskip(SKIP_1) | instid1(VALU_DEP_2)
	v_add_co_u32 v0, s0, v0, v1
	s_wait_alu 0xf1ff
	v_add_co_ci_u32_e64 v1, s0, v3, v2, s0
	s_delay_alu instid0(VALU_DEP_2) | instskip(SKIP_1) | instid1(VALU_DEP_2)
	v_add_co_u32 v2, s0, v0, v57
	s_wait_alu 0xf1ff
	v_add_co_ci_u32_e64 v3, s0, 0, v1, s0
	s_clause 0x1f
	global_load_b64 v[4:5], v[2:3], off
	global_load_b64 v[6:7], v[2:3], off offset:480
	global_load_b64 v[8:9], v[2:3], off offset:960
	global_load_b64 v[10:11], v[2:3], off offset:1440
	global_load_b64 v[12:13], v[2:3], off offset:1920
	global_load_b64 v[14:15], v[2:3], off offset:2400
	global_load_b64 v[16:17], v[2:3], off offset:2880
	global_load_b64 v[18:19], v[2:3], off offset:3360
	global_load_b64 v[20:21], v[2:3], off offset:3840
	global_load_b64 v[22:23], v[2:3], off offset:4320
	global_load_b64 v[24:25], v[2:3], off offset:4800
	global_load_b64 v[26:27], v[2:3], off offset:5280
	global_load_b64 v[28:29], v[2:3], off offset:5760
	global_load_b64 v[30:31], v[2:3], off offset:6240
	global_load_b64 v[32:33], v[2:3], off offset:6720
	global_load_b64 v[34:35], v[2:3], off offset:7200
	global_load_b64 v[36:37], v[2:3], off offset:7680
	global_load_b64 v[38:39], v[2:3], off offset:8160
	global_load_b64 v[40:41], v[2:3], off offset:8640
	global_load_b64 v[42:43], v[2:3], off offset:9120
	global_load_b64 v[44:45], v[2:3], off offset:9600
	global_load_b64 v[46:47], v[2:3], off offset:10080
	global_load_b64 v[48:49], v[2:3], off offset:10560
	global_load_b64 v[50:51], v[2:3], off offset:11040
	global_load_b64 v[52:53], v[2:3], off offset:11520
	global_load_b64 v[54:55], v[2:3], off offset:12000
	global_load_b64 v[62:63], v[2:3], off offset:12480
	global_load_b64 v[64:65], v[2:3], off offset:12960
	global_load_b64 v[66:67], v[2:3], off offset:13440
	global_load_b64 v[68:69], v[2:3], off offset:13920
	global_load_b64 v[70:71], v[2:3], off offset:14400
	global_load_b64 v[72:73], v[2:3], off offset:14880
	s_clause 0x3
	global_load_b64 v[74:75], v[2:3], off offset:15360
	global_load_b64 v[76:77], v[2:3], off offset:15840
	;; [unrolled: 1-line block ×4, first 2 shown]
	v_add_nc_u32_e32 v57, 0, v57
	v_cmp_eq_u32_e64 s0, 59, v56
	s_delay_alu instid0(VALU_DEP_2)
	v_add_nc_u32_e32 v80, 0x400, v57
	v_add_nc_u32_e32 v81, 0x800, v57
	;; [unrolled: 1-line block ×11, first 2 shown]
	s_wait_loadcnt 0x22
	ds_store_2addr_b64 v57, v[4:5], v[6:7] offset1:60
	s_wait_loadcnt 0x20
	ds_store_2addr_b64 v57, v[8:9], v[10:11] offset0:120 offset1:180
	s_wait_loadcnt 0x1e
	ds_store_2addr_b64 v80, v[12:13], v[14:15] offset0:112 offset1:172
	;; [unrolled: 2-line block ×17, first 2 shown]
	s_and_saveexec_b32 s4, s0
	s_cbranch_execz .LBB0_14
; %bb.13:
	global_load_b64 v[0:1], v[0:1], off offset:17280
	v_mov_b32_e32 v2, 0
	v_mov_b32_e32 v56, 59
	s_wait_loadcnt 0x0
	ds_store_b64 v2, v[0:1] offset:17280
.LBB0_14:
	s_wait_alu 0xfffe
	s_or_b32 exec_lo, exec_lo, s4
.LBB0_15:
	s_delay_alu instid0(SALU_CYCLE_1)
	s_or_b32 exec_lo, exec_lo, s1
	v_lshlrev_b32_e32 v0, 3, v56
	global_wb scope:SCOPE_SE
	s_wait_dscnt 0x0
	s_wait_kmcnt 0x0
	s_barrier_signal -1
	s_barrier_wait -1
	global_inv scope:SCOPE_SE
	v_add_nc_u32_e32 v62, 0, v0
	v_sub_nc_u32_e32 v4, 0, v0
	s_mov_b32 s1, exec_lo
                                        ; implicit-def: $vgpr0_vgpr1
	ds_load_b32 v5, v62
	ds_load_b32 v6, v4 offset:17280
	s_wait_dscnt 0x0
	v_dual_sub_f32 v3, v5, v6 :: v_dual_add_f32 v2, v6, v5
	v_cmpx_ne_u32_e32 0, v56
	s_wait_alu 0xfffe
	s_xor_b32 s1, exec_lo, s1
	s_cbranch_execz .LBB0_17
; %bb.16:
	v_dual_mov_b32 v57, 0 :: v_dual_sub_f32 v8, v5, v6
	s_delay_alu instid0(VALU_DEP_1) | instskip(NEXT) | instid1(VALU_DEP_1)
	v_lshlrev_b64_e32 v[0:1], 3, v[56:57]
	v_add_co_u32 v0, s0, s8, v0
	s_wait_alu 0xf1ff
	s_delay_alu instid0(VALU_DEP_2)
	v_add_co_ci_u32_e64 v1, s0, s9, v1, s0
	global_load_b64 v[0:1], v[0:1], off offset:17200
	ds_load_b32 v2, v4 offset:17284
	ds_load_b32 v3, v62 offset:4
	v_add_f32_e32 v7, v6, v5
	s_wait_dscnt 0x0
	v_dual_add_f32 v9, v2, v3 :: v_dual_sub_f32 v2, v3, v2
	s_wait_loadcnt 0x0
	s_delay_alu instid0(VALU_DEP_2) | instskip(NEXT) | instid1(VALU_DEP_2)
	v_fma_f32 v5, -v8, v1, v7
	v_fma_f32 v6, v9, v1, -v2
	v_fma_f32 v10, v8, v1, v7
	s_delay_alu instid0(VALU_DEP_2) | instskip(SKIP_2) | instid1(VALU_DEP_4)
	v_fmac_f32_e32 v6, v8, v0
	v_fma_f32 v3, v9, v1, v2
	v_fmac_f32_e32 v5, v0, v9
	v_fma_f32 v2, -v0, v9, v10
	s_delay_alu instid0(VALU_DEP_3)
	v_fmac_f32_e32 v3, v8, v0
	v_dual_mov_b32 v0, v56 :: v_dual_mov_b32 v1, v57
	ds_store_b64 v4, v[5:6] offset:17280
.LBB0_17:
	s_wait_alu 0xfffe
	s_and_not1_saveexec_b32 s0, s1
	s_cbranch_execz .LBB0_19
; %bb.18:
	v_mov_b32_e32 v7, 0
	ds_load_b64 v[0:1], v7 offset:8640
	s_wait_dscnt 0x0
	v_dual_mul_f32 v6, -2.0, v1 :: v_dual_add_f32 v5, v0, v0
	v_mov_b32_e32 v0, 0
	v_mov_b32_e32 v1, 0
	ds_store_b64 v7, v[5:6] offset:8640
.LBB0_19:
	s_wait_alu 0xfffe
	s_or_b32 exec_lo, exec_lo, s0
	v_lshlrev_b64_e32 v[0:1], 3, v[0:1]
	s_add_nc_u64 s[0:1], s[8:9], 0x4330
	v_add_nc_u32_e32 v67, 0x800, v62
	v_add_nc_u32_e32 v57, 0x1800, v62
	;; [unrolled: 1-line block ×4, first 2 shown]
	s_wait_alu 0xfffe
	v_add_co_u32 v0, s0, s0, v0
	s_wait_alu 0xf1ff
	v_add_co_ci_u32_e64 v1, s0, s1, v1, s0
	s_clause 0x6
	global_load_b64 v[5:6], v[0:1], off offset:480
	global_load_b64 v[7:8], v[0:1], off offset:960
	;; [unrolled: 1-line block ×7, first 2 shown]
	ds_store_b64 v62, v[2:3]
	ds_load_b64 v[2:3], v62 offset:480
	ds_load_b64 v[19:20], v4 offset:16800
	global_load_b64 v[21:22], v[0:1], off offset:3840
	v_cmp_gt_u32_e64 s0, 36, v56
	v_add_nc_u32_e32 v66, 0x1000, v62
	s_wait_dscnt 0x0
	v_dual_add_f32 v23, v2, v19 :: v_dual_add_nc_u32 v68, 0x2000, v62
	v_sub_f32_e32 v25, v2, v19
	v_add_f32_e32 v24, v20, v3
	v_sub_f32_e32 v2, v3, v20
	s_wait_loadcnt 0x7
	s_delay_alu instid0(VALU_DEP_1) | instskip(SKIP_2) | instid1(VALU_DEP_3)
	v_fma_f32 v3, v24, v6, v2
	v_fma_f32 v26, v25, v6, v23
	v_fma_f32 v19, -v25, v6, v23
	v_fmac_f32_e32 v3, v25, v5
	v_fma_f32 v20, v24, v6, -v2
	s_delay_alu instid0(VALU_DEP_4) | instskip(NEXT) | instid1(VALU_DEP_4)
	v_fma_f32 v2, -v5, v24, v26
	v_fmac_f32_e32 v19, v5, v24
	s_delay_alu instid0(VALU_DEP_3)
	v_fmac_f32_e32 v20, v25, v5
	ds_store_b64 v62, v[2:3] offset:480
	ds_store_b64 v4, v[19:20] offset:16800
	ds_load_b64 v[2:3], v62 offset:960
	ds_load_b64 v[5:6], v4 offset:16320
	global_load_b64 v[19:20], v[0:1], off offset:4320
	s_wait_dscnt 0x0
	v_add_f32_e32 v24, v6, v3
	v_sub_f32_e32 v25, v2, v5
	v_dual_add_f32 v23, v2, v5 :: v_dual_sub_f32 v2, v3, v6
	s_wait_loadcnt 0x7
	s_delay_alu instid0(VALU_DEP_1) | instskip(SKIP_1) | instid1(VALU_DEP_2)
	v_fma_f32 v6, v24, v8, -v2
	v_fma_f32 v3, v24, v8, v2
	v_fmac_f32_e32 v6, v25, v7
	v_fma_f32 v26, v25, v8, v23
	v_fma_f32 v5, -v25, v8, v23
	s_delay_alu instid0(VALU_DEP_4) | instskip(NEXT) | instid1(VALU_DEP_3)
	v_fmac_f32_e32 v3, v25, v7
	v_fma_f32 v2, -v7, v24, v26
	s_delay_alu instid0(VALU_DEP_3)
	v_fmac_f32_e32 v5, v7, v24
	ds_store_b64 v62, v[2:3] offset:960
	ds_store_b64 v4, v[5:6] offset:16320
	ds_load_b64 v[2:3], v62 offset:1440
	ds_load_b64 v[5:6], v4 offset:15840
	global_load_b64 v[7:8], v[0:1], off offset:4800
	s_wait_dscnt 0x0
	v_add_f32_e32 v23, v2, v5
	v_sub_f32_e32 v25, v2, v5
	v_add_f32_e32 v24, v6, v3
	v_sub_f32_e32 v2, v3, v6
	s_wait_loadcnt 0x7
	s_delay_alu instid0(VALU_DEP_3) | instskip(SKIP_1) | instid1(VALU_DEP_3)
	v_fma_f32 v26, v25, v10, v23
	v_fma_f32 v5, -v25, v10, v23
	v_fma_f32 v3, v24, v10, v2
	s_delay_alu instid0(VALU_DEP_1) | instskip(SKIP_3) | instid1(VALU_DEP_3)
	v_fmac_f32_e32 v3, v25, v9
	v_fma_f32 v6, v24, v10, -v2
	v_fma_f32 v2, -v9, v24, v26
	v_fmac_f32_e32 v5, v9, v24
	v_fmac_f32_e32 v6, v25, v9
	ds_store_b64 v62, v[2:3] offset:1440
	ds_store_b64 v4, v[5:6] offset:15840
	ds_load_b64 v[2:3], v62 offset:1920
	ds_load_b64 v[5:6], v4 offset:15360
	global_load_b64 v[9:10], v[0:1], off offset:5280
	s_wait_dscnt 0x0
	v_add_f32_e32 v24, v6, v3
	v_sub_f32_e32 v25, v2, v5
	v_dual_add_f32 v23, v2, v5 :: v_dual_sub_f32 v2, v3, v6
	s_wait_loadcnt 0x7
	s_delay_alu instid0(VALU_DEP_1) | instskip(SKIP_1) | instid1(VALU_DEP_2)
	v_fma_f32 v6, v24, v12, -v2
	v_fma_f32 v3, v24, v12, v2
	v_fmac_f32_e32 v6, v25, v11
	v_fma_f32 v26, v25, v12, v23
	v_fma_f32 v5, -v25, v12, v23
	s_delay_alu instid0(VALU_DEP_4) | instskip(NEXT) | instid1(VALU_DEP_3)
	v_fmac_f32_e32 v3, v25, v11
	v_fma_f32 v2, -v11, v24, v26
	s_delay_alu instid0(VALU_DEP_3)
	v_fmac_f32_e32 v5, v11, v24
	ds_store_b64 v62, v[2:3] offset:1920
	ds_store_b64 v4, v[5:6] offset:15360
	ds_load_b64 v[2:3], v62 offset:2400
	ds_load_b64 v[5:6], v4 offset:14880
	global_load_b64 v[11:12], v[0:1], off offset:5760
	s_wait_dscnt 0x0
	v_add_f32_e32 v23, v2, v5
	v_sub_f32_e32 v25, v2, v5
	v_add_f32_e32 v24, v6, v3
	v_sub_f32_e32 v2, v3, v6
	s_wait_loadcnt 0x7
	s_delay_alu instid0(VALU_DEP_3) | instskip(SKIP_1) | instid1(VALU_DEP_3)
	v_fma_f32 v26, v25, v14, v23
	v_fma_f32 v5, -v25, v14, v23
	v_fma_f32 v3, v24, v14, v2
	s_delay_alu instid0(VALU_DEP_1) | instskip(SKIP_3) | instid1(VALU_DEP_3)
	v_fmac_f32_e32 v3, v25, v13
	v_fma_f32 v6, v24, v14, -v2
	v_fma_f32 v2, -v13, v24, v26
	v_fmac_f32_e32 v5, v13, v24
	v_fmac_f32_e32 v6, v25, v13
	ds_store_b64 v62, v[2:3] offset:2400
	ds_store_b64 v4, v[5:6] offset:14880
	ds_load_b64 v[2:3], v62 offset:2880
	ds_load_b64 v[5:6], v4 offset:14400
	global_load_b64 v[13:14], v[0:1], off offset:6240
	s_wait_dscnt 0x0
	v_add_f32_e32 v23, v2, v5
	v_add_f32_e32 v24, v6, v3
	v_dual_sub_f32 v25, v2, v5 :: v_dual_sub_f32 v2, v3, v6
	s_wait_loadcnt 0x7
	s_delay_alu instid0(VALU_DEP_1) | instskip(NEXT) | instid1(VALU_DEP_2)
	v_fma_f32 v26, v25, v16, v23
	v_fma_f32 v3, v24, v16, v2
	v_fma_f32 v5, -v25, v16, v23
	v_fma_f32 v6, v24, v16, -v2
	s_delay_alu instid0(VALU_DEP_4) | instskip(NEXT) | instid1(VALU_DEP_4)
	v_fma_f32 v2, -v15, v24, v26
	v_fmac_f32_e32 v3, v25, v15
	s_delay_alu instid0(VALU_DEP_3)
	v_dual_fmac_f32 v5, v15, v24 :: v_dual_fmac_f32 v6, v25, v15
	ds_store_b64 v62, v[2:3] offset:2880
	ds_store_b64 v4, v[5:6] offset:14400
	ds_load_b64 v[2:3], v62 offset:3360
	ds_load_b64 v[5:6], v4 offset:13920
	global_load_b64 v[15:16], v[0:1], off offset:6720
	s_wait_dscnt 0x0
	v_add_f32_e32 v23, v2, v5
	v_sub_f32_e32 v25, v2, v5
	v_add_f32_e32 v24, v6, v3
	v_sub_f32_e32 v2, v3, v6
	s_wait_loadcnt 0x7
	s_delay_alu instid0(VALU_DEP_3) | instskip(SKIP_1) | instid1(VALU_DEP_3)
	v_fma_f32 v26, v25, v18, v23
	v_fma_f32 v5, -v25, v18, v23
	v_fma_f32 v3, v24, v18, v2
	s_delay_alu instid0(VALU_DEP_1) | instskip(SKIP_3) | instid1(VALU_DEP_3)
	v_fmac_f32_e32 v3, v25, v17
	v_fma_f32 v6, v24, v18, -v2
	v_fma_f32 v2, -v17, v24, v26
	v_fmac_f32_e32 v5, v17, v24
	v_fmac_f32_e32 v6, v25, v17
	ds_store_b64 v62, v[2:3] offset:3360
	ds_store_b64 v4, v[5:6] offset:13920
	ds_load_b64 v[2:3], v62 offset:3840
	ds_load_b64 v[5:6], v4 offset:13440
	global_load_b64 v[17:18], v[0:1], off offset:7200
	s_wait_dscnt 0x0
	v_add_f32_e32 v23, v2, v5
	v_add_f32_e32 v24, v6, v3
	v_dual_sub_f32 v25, v2, v5 :: v_dual_sub_f32 v2, v3, v6
	s_wait_loadcnt 0x7
	s_delay_alu instid0(VALU_DEP_1) | instskip(NEXT) | instid1(VALU_DEP_2)
	v_fma_f32 v26, v25, v22, v23
	v_fma_f32 v3, v24, v22, v2
	v_fma_f32 v5, -v25, v22, v23
	v_fma_f32 v6, v24, v22, -v2
	s_delay_alu instid0(VALU_DEP_4) | instskip(NEXT) | instid1(VALU_DEP_4)
	v_fma_f32 v2, -v21, v24, v26
	v_fmac_f32_e32 v3, v25, v21
	s_delay_alu instid0(VALU_DEP_4) | instskip(NEXT) | instid1(VALU_DEP_4)
	v_fmac_f32_e32 v5, v21, v24
	v_fmac_f32_e32 v6, v25, v21
	ds_store_b64 v62, v[2:3] offset:3840
	ds_store_b64 v4, v[5:6] offset:13440
	ds_load_b64 v[2:3], v62 offset:4320
	ds_load_b64 v[5:6], v4 offset:12960
	global_load_b64 v[21:22], v[0:1], off offset:7680
	s_wait_dscnt 0x0
	v_add_f32_e32 v23, v2, v5
	v_add_f32_e32 v24, v6, v3
	v_dual_sub_f32 v25, v2, v5 :: v_dual_sub_f32 v2, v3, v6
	s_wait_loadcnt 0x7
	s_delay_alu instid0(VALU_DEP_1) | instskip(NEXT) | instid1(VALU_DEP_2)
	v_fma_f32 v26, v25, v20, v23
	v_fma_f32 v3, v24, v20, v2
	v_fma_f32 v5, -v25, v20, v23
	v_fma_f32 v6, v24, v20, -v2
	s_delay_alu instid0(VALU_DEP_4) | instskip(NEXT) | instid1(VALU_DEP_4)
	v_fma_f32 v2, -v19, v24, v26
	v_fmac_f32_e32 v3, v25, v19
	s_delay_alu instid0(VALU_DEP_3)
	v_dual_fmac_f32 v5, v19, v24 :: v_dual_fmac_f32 v6, v25, v19
	ds_store_b64 v62, v[2:3] offset:4320
	ds_store_b64 v4, v[5:6] offset:12960
	ds_load_b64 v[2:3], v62 offset:4800
	ds_load_b64 v[5:6], v4 offset:12480
	global_load_b64 v[19:20], v[0:1], off offset:8160
	s_wait_dscnt 0x0
	v_add_f32_e32 v0, v2, v5
	v_add_f32_e32 v23, v6, v3
	v_sub_f32_e32 v5, v2, v5
	v_sub_f32_e32 v3, v3, v6
	s_wait_loadcnt 0x7
	s_delay_alu instid0(VALU_DEP_2) | instskip(NEXT) | instid1(VALU_DEP_2)
	v_fma_f32 v6, v5, v8, v0
	v_fma_f32 v1, v23, v8, v3
	v_fma_f32 v2, -v5, v8, v0
	v_fma_f32 v3, v23, v8, -v3
	s_delay_alu instid0(VALU_DEP_4) | instskip(NEXT) | instid1(VALU_DEP_4)
	v_fma_f32 v0, -v7, v23, v6
	v_fmac_f32_e32 v1, v5, v7
	s_delay_alu instid0(VALU_DEP_4) | instskip(NEXT) | instid1(VALU_DEP_4)
	v_fmac_f32_e32 v2, v7, v23
	v_fmac_f32_e32 v3, v5, v7
	ds_store_b64 v62, v[0:1] offset:4800
	ds_store_b64 v4, v[2:3] offset:12480
	ds_load_b64 v[0:1], v62 offset:5280
	ds_load_b64 v[2:3], v4 offset:12000
	s_wait_dscnt 0x0
	v_dual_add_f32 v5, v0, v2 :: v_dual_add_f32 v6, v3, v1
	v_dual_sub_f32 v7, v0, v2 :: v_dual_sub_f32 v0, v1, v3
	s_wait_loadcnt 0x6
	s_delay_alu instid0(VALU_DEP_1) | instskip(NEXT) | instid1(VALU_DEP_2)
	v_fma_f32 v8, v7, v10, v5
	v_fma_f32 v1, v6, v10, v0
	v_fma_f32 v2, -v7, v10, v5
	v_fma_f32 v3, v6, v10, -v0
	s_delay_alu instid0(VALU_DEP_4) | instskip(NEXT) | instid1(VALU_DEP_3)
	v_fma_f32 v0, -v9, v6, v8
	v_dual_fmac_f32 v1, v7, v9 :: v_dual_fmac_f32 v2, v9, v6
	s_delay_alu instid0(VALU_DEP_3)
	v_fmac_f32_e32 v3, v7, v9
	ds_store_b64 v62, v[0:1] offset:5280
	ds_store_b64 v4, v[2:3] offset:12000
	ds_load_b64 v[0:1], v62 offset:5760
	ds_load_b64 v[2:3], v4 offset:11520
	s_wait_dscnt 0x0
	v_dual_add_f32 v5, v0, v2 :: v_dual_add_f32 v6, v3, v1
	v_dual_sub_f32 v7, v0, v2 :: v_dual_sub_f32 v0, v1, v3
	s_wait_loadcnt 0x5
	s_delay_alu instid0(VALU_DEP_1) | instskip(NEXT) | instid1(VALU_DEP_2)
	v_fma_f32 v8, v7, v12, v5
	v_fma_f32 v1, v6, v12, v0
	v_fma_f32 v2, -v7, v12, v5
	v_fma_f32 v3, v6, v12, -v0
	s_delay_alu instid0(VALU_DEP_4) | instskip(NEXT) | instid1(VALU_DEP_4)
	v_fma_f32 v0, -v11, v6, v8
	v_fmac_f32_e32 v1, v7, v11
	s_delay_alu instid0(VALU_DEP_4) | instskip(NEXT) | instid1(VALU_DEP_4)
	v_fmac_f32_e32 v2, v11, v6
	v_fmac_f32_e32 v3, v7, v11
	ds_store_b64 v62, v[0:1] offset:5760
	ds_store_b64 v4, v[2:3] offset:11520
	ds_load_b64 v[0:1], v62 offset:6240
	ds_load_b64 v[2:3], v4 offset:11040
	s_wait_dscnt 0x0
	v_dual_add_f32 v5, v0, v2 :: v_dual_add_f32 v6, v3, v1
	v_dual_sub_f32 v7, v0, v2 :: v_dual_sub_f32 v0, v1, v3
	s_wait_loadcnt 0x4
	s_delay_alu instid0(VALU_DEP_1) | instskip(NEXT) | instid1(VALU_DEP_2)
	v_fma_f32 v8, v7, v14, v5
	v_fma_f32 v1, v6, v14, v0
	v_fma_f32 v2, -v7, v14, v5
	v_fma_f32 v3, v6, v14, -v0
	s_delay_alu instid0(VALU_DEP_4) | instskip(NEXT) | instid1(VALU_DEP_3)
	v_fma_f32 v0, -v13, v6, v8
	v_dual_fmac_f32 v1, v7, v13 :: v_dual_fmac_f32 v2, v13, v6
	s_delay_alu instid0(VALU_DEP_3)
	v_fmac_f32_e32 v3, v7, v13
	ds_store_b64 v62, v[0:1] offset:6240
	ds_store_b64 v4, v[2:3] offset:11040
	ds_load_b64 v[0:1], v62 offset:6720
	ds_load_b64 v[2:3], v4 offset:10560
	s_wait_dscnt 0x0
	v_dual_add_f32 v5, v0, v2 :: v_dual_add_f32 v6, v3, v1
	v_dual_sub_f32 v7, v0, v2 :: v_dual_sub_f32 v0, v1, v3
	s_wait_loadcnt 0x3
	s_delay_alu instid0(VALU_DEP_1) | instskip(NEXT) | instid1(VALU_DEP_2)
	;; [unrolled: 37-line block ×3, first 2 shown]
	v_fma_f32 v8, v7, v22, v5
	v_fma_f32 v1, v6, v22, v0
	v_fma_f32 v2, -v7, v22, v5
	v_fma_f32 v3, v6, v22, -v0
	s_delay_alu instid0(VALU_DEP_4) | instskip(NEXT) | instid1(VALU_DEP_3)
	v_fma_f32 v0, -v21, v6, v8
	v_dual_fmac_f32 v1, v7, v21 :: v_dual_fmac_f32 v2, v21, v6
	s_delay_alu instid0(VALU_DEP_3)
	v_fmac_f32_e32 v3, v7, v21
	ds_store_b64 v62, v[0:1] offset:7680
	ds_store_b64 v4, v[2:3] offset:9600
	ds_load_b64 v[0:1], v62 offset:8160
	ds_load_b64 v[2:3], v4 offset:9120
	v_add_nc_u32_e32 v8, 0x1c00, v62
	s_wait_dscnt 0x0
	v_dual_add_f32 v5, v0, v2 :: v_dual_add_f32 v6, v3, v1
	v_sub_f32_e32 v7, v0, v2
	v_sub_f32_e32 v1, v1, v3
	s_wait_loadcnt 0x0
	s_delay_alu instid0(VALU_DEP_2) | instskip(NEXT) | instid1(VALU_DEP_2)
	v_fma_f32 v2, v7, v20, v5
	v_fma_f32 v3, v6, v20, v1
	v_fma_f32 v0, -v7, v20, v5
	v_fma_f32 v1, v6, v20, -v1
	s_delay_alu instid0(VALU_DEP_4) | instskip(NEXT) | instid1(VALU_DEP_4)
	v_fma_f32 v2, -v19, v6, v2
	v_fmac_f32_e32 v3, v7, v19
	s_delay_alu instid0(VALU_DEP_4) | instskip(NEXT) | instid1(VALU_DEP_4)
	v_fmac_f32_e32 v0, v19, v6
	v_fmac_f32_e32 v1, v7, v19
	ds_store_b64 v62, v[2:3] offset:8160
	ds_store_b64 v4, v[0:1] offset:9120
	global_wb scope:SCOPE_SE
	s_wait_dscnt 0x0
	s_barrier_signal -1
	s_barrier_wait -1
	global_inv scope:SCOPE_SE
	global_wb scope:SCOPE_SE
	s_barrier_signal -1
	s_barrier_wait -1
	global_inv scope:SCOPE_SE
	ds_load_2addr_b64 v[40:43], v67 offset0:176 offset1:236
	ds_load_2addr_b64 v[83:86], v57 offset0:96 offset1:156
	;; [unrolled: 1-line block ×4, first 2 shown]
	v_add_nc_u32_e32 v65, 0x400, v62
	v_add_nc_u32_e32 v5, 0x2c00, v62
	;; [unrolled: 1-line block ×3, first 2 shown]
	s_wait_dscnt 0x2
	v_dual_sub_f32 v126, v41, v84 :: v_dual_add_nc_u32 v69, 0x3800, v62
	s_wait_dscnt 0x1
	v_sub_f32_e32 v128, v41, v49
	s_wait_dscnt 0x0
	v_sub_f32_e32 v134, v48, v87
	v_add_f32_e32 v122, v83, v87
	v_sub_f32_e32 v130, v40, v48
	v_sub_f32_e32 v132, v50, v89
	;; [unrolled: 1-line block ×3, first 2 shown]
	ds_load_2addr_b64 v[36:39], v62 offset1:60
	ds_load_2addr_b64 v[44:47], v65 offset0:88 offset1:148
	ds_load_2addr_b64 v[91:94], v66 offset0:136 offset1:196
	;; [unrolled: 1-line block ×10, first 2 shown]
	ds_load_2addr_b64 v[24:27], v57 offset1:60
	ds_load_2addr_b64 v[20:23], v68 offset0:176 offset1:236
	ds_load_2addr_b64 v[16:19], v63 offset0:136 offset1:196
	;; [unrolled: 1-line block ×3, first 2 shown]
	v_add_f32_e32 v82, v42, v50
	v_sub_f32_e32 v74, v85, v42
	v_dual_sub_f32 v76, v42, v50 :: v_dual_add_f32 v105, v43, v51
	s_wait_dscnt 0xe
	v_dual_sub_f32 v120, v42, v85 :: v_dual_add_f32 v103, v39, v43
	v_dual_add_f32 v116, v38, v42 :: v_dual_add_f32 v117, v36, v40
	s_wait_dscnt 0xc
	v_dual_add_f32 v118, v37, v41 :: v_dual_add_f32 v111, v47, v94
	v_dual_sub_f32 v123, v40, v83 :: v_dual_sub_f32 v124, v83, v40
	v_dual_add_f32 v129, v40, v48 :: v_dual_add_f32 v40, v46, v93
	v_dual_add_f32 v42, v45, v92 :: v_dual_sub_f32 v75, v43, v51
	s_wait_dscnt 0xa
	v_add_f32_e32 v138, v97, v101
	s_wait_dscnt 0x9
	v_dual_sub_f32 v79, v89, v50 :: v_dual_add_f32 v140, v92, v53
	v_add_f32_e32 v104, v86, v90
	v_sub_f32_e32 v70, v85, v89
	v_sub_f32_e32 v106, v86, v43
	;; [unrolled: 1-line block ×5, first 2 shown]
	v_add_f32_e32 v108, v93, v54
	v_sub_f32_e32 v109, v97, v93
	v_sub_f32_e32 v110, v101, v54
	v_add_f32_e32 v112, v98, v102
	v_sub_f32_e32 v78, v93, v54
	v_sub_f32_e32 v71, v97, v101
	v_dual_add_f32 v113, v94, v55 :: v_dual_sub_f32 v142, v96, v100
	v_sub_f32_e32 v114, v98, v94
	v_dual_sub_f32 v115, v102, v55 :: v_dual_add_f32 v40, v40, v97
	v_dual_add_f32 v119, v85, v89 :: v_dual_add_f32 v42, v42, v96
	v_sub_f32_e32 v81, v84, v88
	s_wait_dscnt 0x4
	v_dual_add_f32 v125, v84, v88 :: v_dual_add_f32 v144, v5, v29
	v_sub_f32_e32 v127, v84, v41
	v_dual_sub_f32 v93, v93, v97 :: v_dual_sub_f32 v94, v94, v98
	v_dual_add_f32 v84, v118, v84 :: v_dual_sub_f32 v121, v43, v86
	v_add_f32_e32 v97, v111, v98
	v_dual_sub_f32 v98, v55, v102 :: v_dual_add_f32 v43, v116, v85
	v_add_f32_e32 v85, v103, v86
	v_dual_sub_f32 v72, v86, v90 :: v_dual_add_f32 v131, v41, v49
	v_sub_f32_e32 v133, v51, v90
	v_sub_f32_e32 v135, v87, v48
	v_dual_sub_f32 v137, v88, v49 :: v_dual_add_f32 v126, v126, v136
	v_sub_f32_e32 v116, v92, v96
	v_add_f32_e32 v118, v96, v100
	v_add_f32_e32 v84, v84, v88
	v_dual_sub_f32 v88, v53, v100 :: v_dual_add_f32 v143, v74, v79
	v_fma_f32 v74, -0.5, v104, v39
	v_fmac_f32_e32 v39, -0.5, v105
	v_fma_f32 v82, -0.5, v82, v38
	v_add_f32_e32 v105, v106, v107
	s_wait_dscnt 0x0
	v_dual_add_f32 v107, v109, v110 :: v_dual_sub_f32 v110, v32, v16
	v_dual_add_f32 v85, v85, v90 :: v_dual_sub_f32 v90, v100, v53
	v_dual_add_f32 v100, v42, v100 :: v_dual_add_f32 v41, v44, v91
	v_sub_f32_e32 v80, v83, v87
	v_add_f32_e32 v139, v91, v52
	v_sub_f32_e32 v86, v91, v95
	v_sub_f32_e32 v111, v52, v99
	;; [unrolled: 1-line block ×4, first 2 shown]
	v_dual_sub_f32 v96, v54, v101 :: v_dual_add_f32 v83, v117, v83
	v_dual_add_f32 v117, v95, v99 :: v_dual_add_f32 v88, v116, v88
	v_fma_f32 v79, -0.5, v112, v47
	v_add_f32_e32 v112, v114, v115
	v_add_f32_e32 v114, v124, v135
	v_dual_add_f32 v124, v127, v137 :: v_dual_add_f32 v41, v41, v95
	v_add_f32_e32 v120, v120, v132
	v_dual_sub_f32 v116, v20, v24 :: v_dual_add_f32 v97, v97, v102
	v_dual_add_f32 v102, v4, v28 :: v_dual_sub_f32 v103, v95, v91
	v_sub_f32_e32 v91, v91, v52
	v_sub_f32_e32 v95, v95, v99
	v_add_f32_e32 v101, v40, v101
	v_add_f32_e32 v106, v1, v25
	v_dual_add_f32 v90, v92, v90 :: v_dual_add_f32 v83, v83, v87
	v_sub_f32_e32 v87, v99, v52
	v_add_f32_e32 v99, v41, v99
	v_sub_f32_e32 v92, v13, v29
	v_add_f32_e32 v94, v94, v98
	v_fma_f32 v129, -0.5, v129, v36
	v_fma_f32 v122, -0.5, v122, v36
	v_dual_add_f32 v36, v102, v12 :: v_dual_add_f32 v123, v123, v134
	v_sub_f32_e32 v134, v17, v33
	v_add_f32_e32 v89, v43, v89
	ds_load_2addr_b64 v[40:43], v64 offset0:96 offset1:156
	v_dual_sub_f32 v98, v21, v25 :: v_dual_sub_f32 v109, v28, v12
	v_dual_add_f32 v104, v0, v24 :: v_dual_sub_f32 v127, v29, v13
	v_dual_add_f32 v92, v92, v134 :: v_dual_fmac_f32 v47, -0.5, v113
	v_add_f32_e32 v50, v89, v50
	v_fma_f32 v108, -0.5, v108, v46
	v_fma_f32 v117, -0.5, v117, v44
	;; [unrolled: 1-line block ×3, first 2 shown]
	v_sub_f32_e32 v135, v24, v20
	v_fma_f32 v119, -0.5, v119, v38
	v_add_f32_e32 v38, v106, v21
	v_dual_add_f32 v121, v121, v133 :: v_dual_add_f32 v44, v83, v48
	v_dual_add_f32 v48, v99, v52 :: v_dual_add_f32 v109, v109, v110
	v_add_f32_e32 v54, v101, v54
	v_add_f32_e32 v93, v93, v96
	s_wait_dscnt 0x0
	v_sub_f32_e32 v132, v40, v8
	v_sub_f32_e32 v96, v9, v41
	v_dual_add_f32 v86, v86, v111 :: v_dual_sub_f32 v111, v8, v40
	v_dual_sub_f32 v110, v41, v9 :: v_dual_add_f32 v87, v103, v87
	v_sub_f32_e32 v115, v16, v32
	v_add_f32_e32 v116, v116, v132
	v_add_f32_e32 v132, v13, v17
	v_fma_f32 v131, -0.5, v131, v37
	v_fma_f32 v125, -0.5, v125, v37
	v_fmamk_f32 v102, v72, 0x3f737871, v82
	v_fmac_f32_e32 v82, 0xbf737871, v72
	v_add_f32_e32 v37, v104, v20
	v_fmamk_f32 v83, v73, 0x3f737871, v108
	v_dual_fmac_f32 v108, 0xbf737871, v73 :: v_dual_add_f32 v55, v97, v55
	v_fmamk_f32 v97, v142, 0x3f737871, v136
	v_dual_fmac_f32 v136, 0xbf737871, v142 :: v_dual_add_f32 v111, v135, v111
	v_sub_f32_e32 v135, v13, v17
	v_dual_add_f32 v13, v144, v13 :: v_dual_fmac_f32 v102, 0xbf167918, v75
	v_dual_sub_f32 v103, v33, v17 :: v_dual_add_f32 v36, v36, v16
	v_sub_f32_e32 v133, v25, v21
	s_delay_alu instid0(VALU_DEP_3)
	v_dual_add_f32 v13, v13, v17 :: v_dual_fmac_f32 v82, 0x3f167918, v75
	v_dual_add_f32 v17, v37, v40 :: v_dual_fmac_f32 v136, 0x3f167918, v141
	v_fma_f32 v118, -0.5, v118, v45
	v_dual_add_f32 v37, v38, v41 :: v_dual_add_f32 v38, v36, v32
	v_add_f32_e32 v96, v133, v96
	v_dual_sub_f32 v113, v12, v28 :: v_dual_fmamk_f32 v104, v70, 0xbf737871, v39
	v_add_f32_e32 v17, v17, v8
	v_add_f32_e32 v134, v28, v32
	v_fma_f32 v137, -0.5, v140, v45
	s_delay_alu instid0(VALU_DEP_4)
	v_add_f32_e32 v113, v113, v115
	v_add_f32_e32 v115, v12, v16
	v_add_f32_e32 v51, v85, v51
	v_dual_add_f32 v45, v84, v49 :: v_dual_fmac_f32 v104, 0x3f167918, v76
	v_fmamk_f32 v84, v71, 0xbf737871, v47
	v_dual_add_f32 v103, v127, v103 :: v_dual_add_f32 v52, v38, v17
	v_fmac_f32_e32 v47, 0x3f737871, v71
	v_dual_fmamk_f32 v85, v81, 0x3f737871, v129 :: v_dual_sub_f32 v28, v28, v32
	v_dual_fmac_f32 v129, 0xbf737871, v81 :: v_dual_sub_f32 v36, v44, v48
	v_add_f32_e32 v44, v44, v48
	v_sub_f32_e32 v48, v50, v54
	v_add_f32_e32 v50, v50, v54
	v_sub_f32_e32 v54, v38, v17
	v_fmamk_f32 v38, v91, 0x3f737871, v118
	v_dual_fmac_f32 v118, 0xbf737871, v91 :: v_dual_sub_f32 v127, v29, v33
	v_fma_f32 v46, -0.5, v138, v46
	v_dual_add_f32 v49, v100, v53 :: v_dual_fmac_f32 v84, 0x3f167918, v78
	v_fmamk_f32 v99, v95, 0xbf737871, v137
	v_dual_fmac_f32 v137, 0x3f737871, v95 :: v_dual_add_f32 v32, v24, v8
	v_dual_add_f32 v29, v29, v33 :: v_dual_fmac_f32 v118, 0xbf167918, v95
	v_dual_add_f32 v13, v13, v33 :: v_dual_fmac_f32 v38, 0x3f167918, v95
	v_add_f32_e32 v100, v37, v9
	v_sub_f32_e32 v12, v12, v16
	v_add_f32_e32 v16, v20, v40
	v_add_f32_e32 v98, v98, v110
	v_fmac_f32_e32 v39, 0x3f737871, v70
	v_dual_add_f32 v53, v13, v100 :: v_dual_fmac_f32 v108, 0x3f167918, v77
	v_fmac_f32_e32 v99, 0x3f167918, v91
	v_fmac_f32_e32 v137, 0xbf167918, v91
	v_sub_f32_e32 v33, v25, v9
	v_fma_f32 v95, -0.5, v115, v4
	v_fma_f32 v91, -0.5, v134, v4
	v_fma_f32 v106, -0.5, v132, v5
	v_fmamk_f32 v101, v75, 0xbf737871, v119
	v_fma_f32 v110, -0.5, v29, v5
	v_fmac_f32_e32 v119, 0x3f737871, v75
	v_fmamk_f32 v75, v76, 0x3f737871, v74
	v_dual_fmac_f32 v74, 0xbf737871, v76 :: v_dual_sub_f32 v37, v45, v49
	v_add_f32_e32 v45, v45, v49
	v_sub_f32_e32 v49, v51, v55
	v_add_f32_e32 v51, v51, v55
	v_fma_f32 v4, -0.5, v16, v0
	v_dual_sub_f32 v55, v13, v100 :: v_dual_fmamk_f32 v100, v128, 0xbf737871, v122
	v_dual_fmamk_f32 v13, v77, 0xbf737871, v46 :: v_dual_sub_f32 v8, v24, v8
	v_fmac_f32_e32 v46, 0x3f737871, v77
	v_fmac_f32_e32 v122, 0x3f737871, v128
	;; [unrolled: 1-line block ×7, first 2 shown]
	v_fmamk_f32 v128, v135, 0x3f737871, v91
	v_fmac_f32_e32 v91, 0xbf737871, v135
	v_fmamk_f32 v89, v80, 0xbf737871, v131
	v_fma_f32 v5, -0.5, v32, v0
	v_fmamk_f32 v115, v127, 0xbf737871, v95
	v_fmac_f32_e32 v95, 0x3f737871, v127
	v_fmac_f32_e32 v128, 0xbf167918, v127
	;; [unrolled: 1-line block ×3, first 2 shown]
	v_fmamk_f32 v127, v12, 0xbf737871, v110
	v_fmac_f32_e32 v110, 0x3f737871, v12
	v_add_f32_e32 v0, v25, v9
	v_fmac_f32_e32 v100, 0x3e9e377a, v123
	v_fmac_f32_e32 v101, 0xbf167918, v72
	;; [unrolled: 1-line block ×3, first 2 shown]
	v_dual_fmac_f32 v119, 0x3f167918, v72 :: v_dual_sub_f32 v72, v21, v41
	v_dual_add_f32 v21, v21, v41 :: v_dual_fmac_f32 v102, 0x3e9e377a, v143
	v_fmac_f32_e32 v131, 0x3f737871, v80
	v_fmamk_f32 v17, v78, 0x3f737871, v79
	v_dual_fmac_f32 v47, 0xbf167918, v78 :: v_dual_fmac_f32 v110, 0xbf167918, v28
	s_delay_alu instid0(VALU_DEP_4)
	v_fma_f32 v9, -0.5, v21, v1
	v_fma_f32 v1, -0.5, v0, v1
	v_dual_sub_f32 v0, v20, v40 :: v_dual_fmac_f32 v89, 0x3f167918, v130
	v_fmac_f32_e32 v131, 0xbf167918, v130
	v_fmamk_f32 v16, v72, 0x3f737871, v5
	v_dual_fmac_f32 v104, 0x3e9e377a, v105 :: v_dual_fmac_f32 v47, 0x3e9e377a, v112
	s_delay_alu instid0(VALU_DEP_4) | instskip(NEXT) | instid1(VALU_DEP_3)
	v_fmamk_f32 v20, v0, 0xbf737871, v1
	v_dual_fmac_f32 v39, 0xbf167918, v76 :: v_dual_fmac_f32 v16, 0xbf167918, v33
	v_fmamk_f32 v76, v130, 0x3f737871, v125
	v_fmac_f32_e32 v84, 0x3e9e377a, v112
	v_fmac_f32_e32 v125, 0xbf737871, v130
	v_fmamk_f32 v130, v28, 0x3f737871, v106
	v_fmac_f32_e32 v106, 0xbf737871, v28
	v_fmac_f32_e32 v83, 0xbf167918, v77
	v_dual_fmamk_f32 v77, v141, 0xbf737871, v117 :: v_dual_mul_f32 v24, 0xbf737871, v47
	s_delay_alu instid0(VALU_DEP_4) | instskip(SKIP_3) | instid1(VALU_DEP_4)
	v_fmac_f32_e32 v130, 0x3f167918, v12
	v_mul_f32_e32 v40, 0xbf167918, v118
	v_dual_fmac_f32 v108, 0x3e9e377a, v107 :: v_dual_fmac_f32 v85, 0x3e9e377a, v114
	v_dual_fmac_f32 v82, 0x3e9e377a, v143 :: v_dual_fmac_f32 v39, 0x3e9e377a, v105
	v_fmac_f32_e32 v130, 0x3e9e377a, v103
	s_delay_alu instid0(VALU_DEP_3)
	v_dual_mul_f32 v25, 0xbe9e377a, v47 :: v_dual_fmac_f32 v24, 0xbe9e377a, v108
	v_fmamk_f32 v21, v8, 0x3f737871, v9
	v_fmac_f32_e32 v9, 0xbf737871, v8
	v_fmac_f32_e32 v106, 0xbf167918, v12
	;; [unrolled: 1-line block ×3, first 2 shown]
	v_dual_fmac_f32 v79, 0xbf737871, v78 :: v_dual_fmamk_f32 v12, v33, 0xbf737871, v4
	s_delay_alu instid0(VALU_DEP_4)
	v_fmac_f32_e32 v9, 0xbf167918, v0
	v_fmac_f32_e32 v21, 0x3f167918, v0
	;; [unrolled: 1-line block ×10, first 2 shown]
	v_mul_f32_e32 v96, 0xbf167918, v9
	v_fmac_f32_e32 v77, 0x3e9e377a, v86
	v_fmac_f32_e32 v1, 0x3e9e377a, v98
	v_mul_f32_e32 v78, 0xbf737871, v84
	v_fmac_f32_e32 v125, 0xbf167918, v80
	v_mul_f32_e32 v80, 0x3e9e377a, v84
	v_fmac_f32_e32 v117, 0x3f737871, v141
	v_fmac_f32_e32 v4, 0x3f167918, v72
	v_fmac_f32_e32 v20, 0x3f167918, v8
	v_fmac_f32_e32 v12, 0xbf167918, v72
	v_fmac_f32_e32 v80, 0x3f737871, v83
	v_fmac_f32_e32 v117, 0x3f167918, v142
	v_fmac_f32_e32 v4, 0x3e9e377a, v111
	v_fmac_f32_e32 v20, 0x3e9e377a, v98
	v_mul_f32_e32 v98, 0xbf4f1bbd, v9
	v_fmac_f32_e32 v17, 0x3f167918, v71
	v_fmac_f32_e32 v5, 0xbf737871, v72
	v_dual_fmac_f32 v12, 0x3e9e377a, v111 :: v_dual_fmac_f32 v89, 0x3e9e377a, v124
	v_fmac_f32_e32 v136, 0x3e9e377a, v87
	v_fmac_f32_e32 v98, 0x3f167918, v4
	v_dual_fmac_f32 v17, 0x3e9e377a, v94 :: v_dual_fmac_f32 v128, 0x3e9e377a, v113
	v_fmac_f32_e32 v25, 0x3f737871, v108
	v_fmac_f32_e32 v74, 0xbf167918, v70
	;; [unrolled: 1-line block ×3, first 2 shown]
	s_delay_alu instid0(VALU_DEP_4) | instskip(SKIP_4) | instid1(VALU_DEP_4)
	v_mul_f32_e32 v72, 0xbf167918, v17
	v_fmac_f32_e32 v137, 0x3e9e377a, v90
	v_add_f32_e32 v9, v39, v25
	v_fmac_f32_e32 v122, 0x3f167918, v81
	v_dual_fmac_f32 v99, 0x3e9e377a, v90 :: v_dual_fmac_f32 v74, 0x3e9e377a, v121
	v_mul_f32_e32 v32, 0xbf737871, v137
	v_fmac_f32_e32 v117, 0x3e9e377a, v86
	v_mul_f32_e32 v47, 0xbf167918, v38
	v_dual_fmac_f32 v131, 0x3e9e377a, v124 :: v_dual_fmac_f32 v122, 0x3e9e377a, v123
	s_delay_alu instid0(VALU_DEP_4) | instskip(SKIP_4) | instid1(VALU_DEP_4)
	v_fmac_f32_e32 v32, 0xbe9e377a, v136
	v_dual_fmac_f32 v75, 0x3f167918, v70 :: v_dual_mul_f32 v70, 0x3f167918, v77
	v_fmac_f32_e32 v129, 0x3e9e377a, v114
	v_mul_f32_e32 v88, 0xbf737871, v20
	v_fmac_f32_e32 v40, 0xbf4f1bbd, v117
	v_dual_fmac_f32 v47, 0x3f4f1bbd, v77 :: v_dual_fmac_f32 v70, 0x3f4f1bbd, v38
	v_fmac_f32_e32 v127, 0x3f167918, v28
	v_mul_f32_e32 v28, 0xbf737871, v99
	v_fmac_f32_e32 v115, 0xbf167918, v135
	v_dual_fmac_f32 v16, 0x3e9e377a, v116 :: v_dual_mul_f32 v29, 0x3e9e377a, v99
	v_mul_f32_e32 v90, 0x3e9e377a, v20
	s_delay_alu instid0(VALU_DEP_3)
	v_dual_add_f32 v20, v122, v40 :: v_dual_fmac_f32 v115, 0x3e9e377a, v109
	v_dual_fmac_f32 v13, 0xbf167918, v73 :: v_dual_add_f32 v8, v82, v24
	v_fmac_f32_e32 v78, 0x3e9e377a, v83
	v_fmac_f32_e32 v97, 0xbf167918, v141
	;; [unrolled: 1-line block ×4, first 2 shown]
	v_dual_add_f32 v16, v129, v32 :: v_dual_fmac_f32 v75, 0x3e9e377a, v121
	v_dual_fmac_f32 v13, 0x3e9e377a, v93 :: v_dual_fmac_f32 v110, 0x3e9e377a, v92
	v_fmac_f32_e32 v96, 0xbf4f1bbd, v4
	v_dual_add_f32 v4, v102, v78 :: v_dual_fmac_f32 v97, 0x3e9e377a, v87
	v_fmac_f32_e32 v76, 0x3e9e377a, v126
	s_delay_alu instid0(VALU_DEP_4) | instskip(SKIP_4) | instid1(VALU_DEP_4)
	v_mul_f32_e32 v73, 0x3f167918, v13
	v_mul_f32_e32 v86, 0xbf167918, v21
	;; [unrolled: 1-line block ×3, first 2 shown]
	v_fmac_f32_e32 v28, 0x3e9e377a, v97
	v_fmac_f32_e32 v79, 0xbf167918, v71
	v_dual_fmac_f32 v73, 0x3f4f1bbd, v17 :: v_dual_fmac_f32 v86, 0x3f4f1bbd, v12
	s_delay_alu instid0(VALU_DEP_3) | instskip(NEXT) | instid1(VALU_DEP_3)
	v_dual_fmac_f32 v125, 0x3e9e377a, v126 :: v_dual_add_f32 v12, v85, v28
	v_fmac_f32_e32 v79, 0x3e9e377a, v94
	v_mul_f32_e32 v41, 0xbf4f1bbd, v118
	v_dual_fmac_f32 v95, 0x3f167918, v135 :: v_dual_sub_f32 v28, v85, v28
	v_mul_u32_u24_e32 v0, 10, v56
	s_delay_alu instid0(VALU_DEP_4) | instskip(SKIP_2) | instid1(VALU_DEP_4)
	v_mul_f32_e32 v81, 0xbf167918, v79
	v_mul_f32_e32 v84, 0xbf4f1bbd, v79
	v_dual_sub_f32 v38, v122, v40 :: v_dual_fmac_f32 v29, 0x3f737871, v97
	v_lshl_add_u32 v105, v0, 3, 0
	s_delay_alu instid0(VALU_DEP_4) | instskip(NEXT) | instid1(VALU_DEP_4)
	v_fmac_f32_e32 v81, 0xbf4f1bbd, v46
	v_fmac_f32_e32 v84, 0x3f167918, v46
	v_dual_add_f32 v46, v100, v47 :: v_dual_fmac_f32 v127, 0x3e9e377a, v92
	v_mul_f32_e32 v92, 0xbf737871, v1
	v_fmac_f32_e32 v5, 0x3f167918, v33
	v_fmac_f32_e32 v95, 0x3e9e377a, v109
	v_mul_f32_e32 v33, 0xbe9e377a, v137
	v_add_nc_u32_e32 v124, 0x1300, v105
	v_mul_f32_e32 v1, 0xbe9e377a, v1
	v_fmac_f32_e32 v5, 0x3e9e377a, v116
	v_fmac_f32_e32 v41, 0x3f167918, v117
	v_add_f32_e32 v71, v75, v73
	v_sub_f32_e32 v73, v75, v73
	v_sub_f32_e32 v75, v102, v78
	v_add_f32_e32 v78, v74, v84
	v_dual_fmac_f32 v92, 0xbe9e377a, v5 :: v_dual_add_f32 v93, v95, v96
	v_dual_sub_f32 v95, v95, v96 :: v_dual_sub_f32 v96, v106, v98
	v_fmac_f32_e32 v33, 0x3f737871, v136
	v_add_nc_u32_e32 v112, 0x12d0, v105
	v_add_nc_u32_e32 v0, 0x12c0, v105
	;; [unrolled: 1-line block ×4, first 2 shown]
	v_fmac_f32_e32 v87, 0x3f4f1bbd, v21
	v_fmac_f32_e32 v1, 0x3f737871, v5
	;; [unrolled: 1-line block ×3, first 2 shown]
	v_add_f32_e32 v5, v104, v80
	v_add_f32_e32 v17, v131, v33
	;; [unrolled: 1-line block ×3, first 2 shown]
	v_dual_sub_f32 v25, v39, v25 :: v_dual_sub_f32 v32, v129, v32
	v_fmac_f32_e32 v91, 0x3e9e377a, v113
	v_dual_sub_f32 v39, v125, v41 :: v_dual_sub_f32 v40, v100, v47
	v_fmac_f32_e32 v101, 0x3e9e377a, v120
	v_sub_f32_e32 v41, v76, v70
	v_add_f32_e32 v47, v76, v70
	v_sub_f32_e32 v76, v104, v80
	v_sub_f32_e32 v80, v74, v84
	v_fmac_f32_e32 v72, 0x3f4f1bbd, v13
	v_add_f32_e32 v13, v89, v29
	v_sub_f32_e32 v29, v89, v29
	v_add_f32_e32 v89, v91, v92
	v_sub_f32_e32 v33, v131, v33
	v_add_nc_u32_e32 v132, 0x2580, v105
	v_dual_sub_f32 v83, v115, v86 :: v_dual_add_nc_u32 v126, 0x25b0, v105
	v_dual_add_f32 v85, v128, v88 :: v_dual_add_nc_u32 v134, 0x25c0, v105
	global_wb scope:SCOPE_SE
	s_barrier_signal -1
	s_barrier_wait -1
	global_inv scope:SCOPE_SE
	v_dual_sub_f32 v24, v82, v24 :: v_dual_add_f32 v77, v119, v81
	v_sub_f32_e32 v79, v119, v81
	v_dual_add_f32 v81, v115, v86 :: v_dual_add_f32 v82, v130, v87
	v_sub_f32_e32 v84, v130, v87
	v_dual_add_f32 v86, v127, v90 :: v_dual_sub_f32 v87, v128, v88
	v_sub_f32_e32 v88, v127, v90
	v_dual_add_f32 v90, v110, v1 :: v_dual_sub_f32 v91, v91, v92
	v_sub_f32_e32 v92, v110, v1
	v_dual_add_f32 v70, v101, v72 :: v_dual_add_nc_u32 v107, 0x12e0, v105
	v_dual_sub_f32 v72, v101, v72 :: v_dual_add_nc_u32 v133, 0x2590, v105
	v_add_f32_e32 v94, v106, v98
	ds_store_2addr_b64 v105, v[12:13], v[16:17] offset0:2 offset1:3
	ds_store_2addr_b64 v105, v[20:21], v[36:37] offset0:4 offset1:5
	;; [unrolled: 1-line block ×4, first 2 shown]
	ds_store_2addr_b64 v105, v[44:45], v[46:47] offset1:1
	ds_store_2addr_b64 v0, v[50:51], v[70:71] offset1:1
	;; [unrolled: 1-line block ×11, first 2 shown]
	s_and_saveexec_b32 s1, s0
	s_cbranch_execz .LBB0_21
; %bb.20:
	v_dual_add_f32 v1, v15, v19 :: v_dual_sub_f32 v8, v30, v34
	v_dual_add_f32 v9, v23, v43 :: v_dual_sub_f32 v16, v26, v10
	v_dual_sub_f32 v5, v35, v19 :: v_dual_add_f32 v12, v22, v42
	s_delay_alu instid0(VALU_DEP_3) | instskip(NEXT) | instid1(VALU_DEP_3)
	v_fma_f32 v1, -0.5, v1, v7
	v_fma_f32 v17, -0.5, v9, v3
	v_dual_sub_f32 v4, v31, v15 :: v_dual_sub_f32 v13, v26, v22
	s_delay_alu instid0(VALU_DEP_4) | instskip(NEXT) | instid1(VALU_DEP_4)
	v_fma_f32 v12, -0.5, v12, v2
	v_dual_fmamk_f32 v20, v8, 0xbf737871, v1 :: v_dual_sub_f32 v9, v27, v11
	v_dual_sub_f32 v21, v27, v23 :: v_dual_sub_f32 v28, v22, v42
	v_dual_sub_f32 v24, v11, v43 :: v_dual_fmamk_f32 v25, v16, 0xbf737871, v17
	s_delay_alu instid0(VALU_DEP_3) | instskip(SKIP_1) | instid1(VALU_DEP_3)
	v_dual_sub_f32 v29, v10, v42 :: v_dual_fmamk_f32 v32, v9, 0x3f737871, v12
	v_sub_f32_e32 v33, v23, v43
	v_add_f32_e32 v21, v21, v24
	s_delay_alu instid0(VALU_DEP_4) | instskip(SKIP_3) | instid1(VALU_DEP_4)
	v_fmac_f32_e32 v25, 0xbf167918, v28
	v_dual_add_f32 v5, v4, v5 :: v_dual_add_f32 v4, v31, v35
	v_dual_sub_f32 v24, v14, v18 :: v_dual_add_f32 v13, v13, v29
	v_fmac_f32_e32 v32, 0x3f167918, v33
	v_dual_fmac_f32 v25, 0x3e9e377a, v21 :: v_dual_sub_f32 v38, v19, v35
	s_delay_alu instid0(VALU_DEP_4) | instskip(NEXT) | instid1(VALU_DEP_4)
	v_fma_f32 v36, -0.5, v4, v7
	v_fmac_f32_e32 v20, 0xbf167918, v24
	s_delay_alu instid0(VALU_DEP_4) | instskip(NEXT) | instid1(VALU_DEP_4)
	v_dual_fmac_f32 v32, 0x3e9e377a, v13 :: v_dual_sub_f32 v37, v15, v31
	v_dual_mul_f32 v29, 0xbf4f1bbd, v25 :: v_dual_sub_f32 v44, v43, v11
	s_delay_alu instid0(VALU_DEP_4) | instskip(SKIP_1) | instid1(VALU_DEP_3)
	v_dual_fmamk_f32 v40, v24, 0x3f737871, v36 :: v_dual_add_f32 v41, v26, v10
	v_add_f32_e32 v39, v27, v11
	v_dual_fmac_f32 v29, 0x3f167918, v32 :: v_dual_sub_f32 v46, v22, v26
	s_delay_alu instid0(VALU_DEP_3) | instskip(SKIP_1) | instid1(VALU_DEP_4)
	v_fmac_f32_e32 v40, 0xbf167918, v8
	v_dual_fmac_f32 v20, 0x3e9e377a, v5 :: v_dual_add_f32 v37, v37, v38
	v_fma_f32 v38, -0.5, v39, v3
	v_fma_f32 v39, -0.5, v41, v2
	s_delay_alu instid0(VALU_DEP_3) | instskip(NEXT) | instid1(VALU_DEP_4)
	v_dual_sub_f32 v41, v23, v27 :: v_dual_sub_f32 v4, v20, v29
	v_dual_sub_f32 v47, v42, v10 :: v_dual_fmac_f32 v40, 0x3e9e377a, v37
	s_delay_alu instid0(VALU_DEP_4) | instskip(NEXT) | instid1(VALU_DEP_4)
	v_fmamk_f32 v45, v28, 0x3f737871, v38
	v_fmamk_f32 v48, v33, 0xbf737871, v39
	s_delay_alu instid0(VALU_DEP_3) | instskip(SKIP_1) | instid1(VALU_DEP_4)
	v_dual_add_f32 v41, v41, v44 :: v_dual_add_f32 v44, v46, v47
	v_fmac_f32_e32 v12, 0xbf737871, v9
	v_fmac_f32_e32 v45, 0xbf167918, v16
	s_delay_alu instid0(VALU_DEP_4) | instskip(SKIP_1) | instid1(VALU_DEP_4)
	v_fmac_f32_e32 v48, 0x3f167918, v9
	v_dual_fmac_f32 v36, 0xbf737871, v24 :: v_dual_add_f32 v3, v3, v27
	v_fmac_f32_e32 v12, 0xbf167918, v33
	s_delay_alu instid0(VALU_DEP_3) | instskip(SKIP_1) | instid1(VALU_DEP_2)
	v_dual_fmac_f32 v45, 0x3e9e377a, v41 :: v_dual_fmac_f32 v48, 0x3e9e377a, v44
	v_dual_fmac_f32 v38, 0xbf737871, v28 :: v_dual_add_f32 v7, v7, v31
	v_dual_add_f32 v3, v3, v23 :: v_dual_mul_f32 v46, 0xbe9e377a, v45
	v_fmac_f32_e32 v39, 0x3f737871, v33
	s_delay_alu instid0(VALU_DEP_3) | instskip(SKIP_1) | instid1(VALU_DEP_4)
	v_dual_fmac_f32 v38, 0x3f167918, v16 :: v_dual_add_f32 v7, v7, v15
	v_fmac_f32_e32 v36, 0x3f167918, v8
	v_fmac_f32_e32 v46, 0x3f737871, v48
	s_delay_alu instid0(VALU_DEP_4) | instskip(SKIP_2) | instid1(VALU_DEP_3)
	v_fmac_f32_e32 v39, 0xbf167918, v9
	v_fmac_f32_e32 v17, 0x3f737871, v16
	v_dual_fmac_f32 v1, 0x3f737871, v8 :: v_dual_add_f32 v8, v30, v34
	v_dual_fmac_f32 v38, 0x3e9e377a, v41 :: v_dual_fmac_f32 v39, 0x3e9e377a, v44
	v_add_f32_e32 v3, v3, v43
	v_sub_f32_e32 v15, v15, v19
	s_delay_alu instid0(VALU_DEP_4) | instskip(SKIP_3) | instid1(VALU_DEP_2)
	v_fma_f32 v27, -0.5, v8, v6
	v_dual_sub_f32 v8, v34, v18 :: v_dual_fmac_f32 v1, 0x3f167918, v24
	v_dual_sub_f32 v24, v30, v14 :: v_dual_fmac_f32 v17, 0x3f167918, v28
	v_dual_add_f32 v7, v7, v19 :: v_dual_fmac_f32 v36, 0x3e9e377a, v37
	v_dual_mul_f32 v37, 0x3e9e377a, v38 :: v_dual_add_f32 v8, v24, v8
	s_delay_alu instid0(VALU_DEP_3) | instskip(SKIP_2) | instid1(VALU_DEP_4)
	v_fmac_f32_e32 v17, 0x3e9e377a, v21
	v_dual_add_f32 v21, v3, v11 :: v_dual_mul_f32 v24, 0xbf167918, v25
	v_add_f32_e32 v3, v14, v18
	v_dual_fmac_f32 v37, 0x3f737871, v39 :: v_dual_add_f32 v2, v2, v26
	v_fmac_f32_e32 v12, 0x3e9e377a, v13
	s_delay_alu instid0(VALU_DEP_4) | instskip(NEXT) | instid1(VALU_DEP_4)
	v_fmac_f32_e32 v24, 0xbf4f1bbd, v32
	v_fma_f32 v23, -0.5, v3, v6
	v_dual_sub_f32 v3, v31, v35 :: v_dual_mul_f32 v26, 0xbf167918, v17
	v_dual_sub_f32 v9, v36, v37 :: v_dual_add_f32 v6, v6, v30
	s_delay_alu instid0(VALU_DEP_2) | instskip(SKIP_2) | instid1(VALU_DEP_3)
	v_dual_sub_f32 v19, v14, v30 :: v_dual_fmamk_f32 v28, v3, 0x3f737871, v23
	v_add_f32_e32 v2, v2, v22
	v_mul_f32_e32 v22, 0xbf737871, v38
	v_dual_sub_f32 v31, v18, v34 :: v_dual_fmac_f32 v28, 0x3f167918, v15
	v_fmac_f32_e32 v1, 0x3e9e377a, v5
	v_dual_add_f32 v5, v7, v35 :: v_dual_mul_f32 v16, 0x3f167918, v12
	s_delay_alu instid0(VALU_DEP_3) | instskip(NEXT) | instid1(VALU_DEP_2)
	v_dual_sub_f32 v7, v40, v46 :: v_dual_fmac_f32 v28, 0x3e9e377a, v8
	v_dual_add_f32 v2, v2, v42 :: v_dual_sub_f32 v13, v5, v21
	s_delay_alu instid0(VALU_DEP_3) | instskip(SKIP_3) | instid1(VALU_DEP_4)
	v_fmac_f32_e32 v16, 0x3f4f1bbd, v17
	v_fmac_f32_e32 v22, 0x3e9e377a, v39
	v_mul_f32_e32 v25, 0xbf737871, v45
	v_dual_add_f32 v19, v19, v31 :: v_dual_fmac_f32 v26, 0x3f4f1bbd, v12
	v_sub_f32_e32 v11, v1, v16
	v_add_f32_e32 v31, v2, v10
	v_fmamk_f32 v33, v15, 0xbf737871, v27
	v_fmac_f32_e32 v25, 0xbe9e377a, v48
	v_fmac_f32_e32 v27, 0x3f737871, v15
	v_dual_fmac_f32 v23, 0xbf737871, v3 :: v_dual_add_f32 v2, v20, v29
	s_delay_alu instid0(VALU_DEP_4) | instskip(SKIP_1) | instid1(VALU_DEP_4)
	v_fmac_f32_e32 v33, 0x3f167918, v3
	v_add_f32_e32 v21, v5, v21
	v_fmac_f32_e32 v27, 0xbf167918, v3
	v_add_f32_e32 v3, v6, v14
	v_fmac_f32_e32 v23, 0xbf167918, v15
	v_add_nc_u32_e32 v5, 0x2580, v0
	v_add_f32_e32 v15, v40, v46
	v_add_f32_e32 v17, v36, v37
	;; [unrolled: 1-line block ×3, first 2 shown]
	v_fmac_f32_e32 v23, 0x3e9e377a, v8
	s_delay_alu instid0(VALU_DEP_2) | instskip(NEXT) | instid1(VALU_DEP_2)
	v_dual_fmac_f32 v27, 0x3e9e377a, v19 :: v_dual_add_f32 v30, v3, v34
	v_dual_add_f32 v18, v23, v26 :: v_dual_fmac_f32 v33, 0x3e9e377a, v19
	v_dual_sub_f32 v10, v23, v26 :: v_dual_sub_f32 v3, v28, v24
	v_add_f32_e32 v19, v1, v16
	v_add_f32_e32 v1, v28, v24
	v_add_nc_u32_e32 v24, 0x25b0, v0
	v_add_f32_e32 v20, v30, v31
	v_sub_f32_e32 v8, v27, v22
	v_add_f32_e32 v16, v27, v22
	v_add_f32_e32 v14, v33, v25
	v_add_nc_u32_e32 v22, 0x2590, v0
	v_dual_sub_f32 v12, v30, v31 :: v_dual_add_nc_u32 v23, 0x25a0, v0
	v_sub_f32_e32 v6, v33, v25
	v_add_nc_u32_e32 v0, 0x25c0, v0
	ds_store_2addr_b64 v5, v[20:21], v[18:19] offset1:1
	ds_store_2addr_b64 v22, v[16:17], v[14:15] offset1:1
	ds_store_2addr_b64 v23, v[1:2], v[12:13] offset1:1
	ds_store_2addr_b64 v24, v[10:11], v[8:9] offset1:1
	ds_store_2addr_b64 v0, v[6:7], v[3:4] offset1:1
.LBB0_21:
	s_wait_alu 0xfffe
	s_or_b32 exec_lo, exec_lo, s1
	v_and_b32_e32 v0, 0xff, v56
	v_add_nc_u32_e32 v15, 60, v56
	v_add_nc_u16 v17, v56, 0x78
	v_add_nc_u16 v19, v56, 0xb4
	global_wb scope:SCOPE_SE
	s_wait_dscnt 0x0
	v_mul_lo_u16 v0, 0xcd, v0
	v_and_b32_e32 v1, 0xff, v15
	s_barrier_signal -1
	s_barrier_wait -1
	global_inv scope:SCOPE_SE
	v_lshrrev_b16 v25, 11, v0
	v_mul_lo_u16 v0, 0xcd, v1
	s_delay_alu instid0(VALU_DEP_2) | instskip(NEXT) | instid1(VALU_DEP_2)
	v_mul_lo_u16 v1, v25, 10
	v_lshrrev_b16 v24, 11, v0
	v_and_b32_e32 v25, 0xffff, v25
	s_delay_alu instid0(VALU_DEP_3) | instskip(NEXT) | instid1(VALU_DEP_3)
	v_sub_nc_u16 v0, v56, v1
	v_mul_lo_u16 v1, v24, 10
	v_and_b32_e32 v24, 0xffff, v24
	s_delay_alu instid0(VALU_DEP_4) | instskip(NEXT) | instid1(VALU_DEP_4)
	v_mul_u32_u24_e32 v25, 0x1e0, v25
	v_and_b32_e32 v26, 0xff, v0
	s_delay_alu instid0(VALU_DEP_4) | instskip(NEXT) | instid1(VALU_DEP_4)
	v_sub_nc_u16 v0, v15, v1
	v_mul_u32_u24_e32 v24, 0x1e0, v24
	s_delay_alu instid0(VALU_DEP_3) | instskip(NEXT) | instid1(VALU_DEP_3)
	v_mul_u32_u24_e32 v1, 5, v26
	v_and_b32_e32 v27, 0xff, v0
	s_delay_alu instid0(VALU_DEP_2) | instskip(NEXT) | instid1(VALU_DEP_2)
	v_lshlrev_b32_e32 v4, 3, v1
	v_mul_u32_u24_e32 v5, 5, v27
	global_load_b64 v[126:127], v4, s[8:9] offset:32
	v_lshlrev_b32_e32 v5, 3, v5
	s_clause 0x1
	global_load_b128 v[0:3], v4, s[8:9]
	global_load_b128 v[40:43], v4, s[8:9] offset:16
	v_and_b32_e32 v20, 0xff, v19
	v_add_nc_u32_e32 v16, 0xf0, v56
	global_load_b128 v[36:39], v5, s[8:9]
	v_and_b32_e32 v23, 0xff, v17
	global_load_b128 v[44:47], v5, s[8:9] offset:16
	v_mul_lo_u16 v7, 0xcd, v20
	v_add_nc_u32_e32 v18, 0x12c, v56
	v_mul_lo_u16 v6, 0xcd, v23
	s_delay_alu instid0(VALU_DEP_3) | instskip(NEXT) | instid1(VALU_DEP_3)
	v_lshrrev_b16 v28, 11, v7
	v_and_b32_e32 v22, 0xffff, v18
	s_delay_alu instid0(VALU_DEP_3) | instskip(NEXT) | instid1(VALU_DEP_3)
	v_lshrrev_b16 v31, 11, v6
	v_mul_lo_u16 v7, v28, 10
	s_delay_alu instid0(VALU_DEP_3) | instskip(NEXT) | instid1(VALU_DEP_3)
	v_mul_u32_u24_e32 v9, 0xcccd, v22
	v_mul_lo_u16 v6, v31, 10
	s_delay_alu instid0(VALU_DEP_3) | instskip(NEXT) | instid1(VALU_DEP_3)
	v_sub_nc_u16 v7, v19, v7
	v_lshrrev_b32_e32 v33, 19, v9
	s_delay_alu instid0(VALU_DEP_3) | instskip(NEXT) | instid1(VALU_DEP_3)
	v_sub_nc_u16 v6, v17, v6
	v_and_b32_e32 v29, 0xff, v7
	s_delay_alu instid0(VALU_DEP_2) | instskip(NEXT) | instid1(VALU_DEP_2)
	v_and_b32_e32 v32, 0xff, v6
	v_mul_u32_u24_e32 v7, 5, v29
	s_delay_alu instid0(VALU_DEP_2) | instskip(NEXT) | instid1(VALU_DEP_2)
	v_mul_u32_u24_e32 v6, 5, v32
	v_lshlrev_b32_e32 v7, 3, v7
	s_delay_alu instid0(VALU_DEP_2)
	v_lshlrev_b32_e32 v6, 3, v6
	s_clause 0x3
	global_load_b128 v[52:55], v7, s[8:9]
	global_load_b128 v[74:77], v7, s[8:9] offset:16
	global_load_b128 v[70:73], v6, s[8:9] offset:16
	global_load_b128 v[48:51], v6, s[8:9]
	v_and_b32_e32 v21, 0xffff, v16
	s_clause 0x2
	global_load_b64 v[128:129], v5, s[8:9] offset:32
	global_load_b64 v[130:131], v6, s[8:9] offset:32
	;; [unrolled: 1-line block ×3, first 2 shown]
	v_add_nc_u32_e32 v13, 0x1400, v62
	v_mul_u32_u24_e32 v8, 0xcccd, v21
	s_delay_alu instid0(VALU_DEP_1) | instskip(NEXT) | instid1(VALU_DEP_1)
	v_lshrrev_b32_e32 v30, 19, v8
	v_mul_lo_u16 v8, v30, 10
	s_delay_alu instid0(VALU_DEP_1) | instskip(NEXT) | instid1(VALU_DEP_1)
	v_sub_nc_u16 v8, v16, v8
	v_and_b32_e32 v35, 0xffff, v8
	v_mul_lo_u16 v8, v33, 10
	s_delay_alu instid0(VALU_DEP_2) | instskip(NEXT) | instid1(VALU_DEP_2)
	v_mul_u32_u24_e32 v4, 5, v35
	v_sub_nc_u16 v5, v18, v8
	s_delay_alu instid0(VALU_DEP_2) | instskip(NEXT) | instid1(VALU_DEP_2)
	v_lshlrev_b32_e32 v4, 3, v4
	v_and_b32_e32 v34, 0xffff, v5
	s_clause 0x1
	global_load_b128 v[78:81], v4, s[8:9]
	global_load_b128 v[82:85], v4, s[8:9] offset:16
	v_mul_u32_u24_e32 v5, 5, v34
	s_delay_alu instid0(VALU_DEP_1)
	v_lshlrev_b32_e32 v5, 3, v5
	s_clause 0x3
	global_load_b64 v[134:135], v4, s[8:9] offset:32
	global_load_b128 v[86:89], v5, s[8:9]
	global_load_b128 v[90:93], v5, s[8:9] offset:16
	global_load_b64 v[136:137], v5, s[8:9] offset:32
	ds_load_2addr_b64 v[94:97], v67 offset0:104 offset1:164
	ds_load_2addr_b64 v[98:101], v13 offset0:80 offset1:140
	ds_load_2addr_b64 v[8:11], v62 offset1:60
	ds_load_2addr_b64 v[102:105], v68 offset0:56 offset1:116
	ds_load_2addr_b64 v[106:109], v63 offset0:160 offset1:220
	;; [unrolled: 1-line block ×4, first 2 shown]
	v_add_nc_u32_e32 v12, 0xc00, v62
	ds_load_2addr_b64 v[114:117], v57 offset0:72 offset1:132
	ds_load_2addr_b64 v[118:121], v68 offset0:176 offset1:236
	;; [unrolled: 1-line block ×3, first 2 shown]
	s_wait_loadcnt_dscnt 0x1009
	v_mul_f32_e32 v138, v95, v1
	v_mul_f32_e32 v1, v94, v1
	s_wait_dscnt 0x8
	v_mul_f32_e32 v139, v99, v3
	v_mul_f32_e32 v3, v98, v3
	s_wait_loadcnt_dscnt 0xf06
	v_dual_mul_f32 v143, v103, v41 :: v_dual_fmac_f32 v138, v94, v0
	v_fma_f32 v140, v95, v0, -v1
	s_wait_loadcnt 0xe
	v_dual_mul_f32 v0, v96, v37 :: v_dual_fmac_f32 v139, v98, v2
	s_delay_alu instid0(VALU_DEP_3) | instskip(SKIP_1) | instid1(VALU_DEP_3)
	v_dual_mul_f32 v98, v97, v37 :: v_dual_fmac_f32 v143, v102, v40
	v_mul_f32_e32 v141, v101, v39
	v_fma_f32 v142, v97, v36, -v0
	v_mul_f32_e32 v0, v102, v41
	s_delay_alu instid0(VALU_DEP_4)
	v_fmac_f32_e32 v98, v96, v36
	v_mul_f32_e32 v1, v100, v39
	v_fmac_f32_e32 v141, v100, v38
	s_wait_loadcnt_dscnt 0xd05
	v_mul_f32_e32 v14, v108, v47
	v_fma_f32 v102, v103, v40, -v0
	v_mul_f32_e32 v103, v105, v45
	ds_load_2addr_b64 v[94:97], v12 offset0:96 offset1:156
	v_fma_f32 v100, v101, v38, -v1
	v_mul_f32_e32 v101, v107, v43
	v_dual_mul_f32 v1, v106, v43 :: v_dual_mul_f32 v0, v104, v45
	v_fmac_f32_e32 v103, v104, v44
	ds_load_2addr_b64 v[36:39], v69 offset0:128 offset1:188
	v_fmac_f32_e32 v101, v106, v42
	v_fma_f32 v106, v107, v42, -v1
	v_mul_f32_e32 v107, v109, v47
	v_fma_f32 v104, v105, v44, -v0
	v_fma_f32 v105, v109, v46, -v14
	;; [unrolled: 1-line block ×3, first 2 shown]
	ds_load_2addr_b64 v[0:3], v65 offset0:112 offset1:172
	v_fmac_f32_e32 v107, v108, v46
	ds_load_2addr_b64 v[44:47], v66 offset0:88 offset1:148
	v_lshlrev_b32_e32 v26, 3, v26
	s_delay_alu instid0(VALU_DEP_1)
	v_add3_u32 v25, 0, v25, v26
	s_wait_loadcnt_dscnt 0xc03
	v_mul_f32_e32 v144, v97, v53
	v_lshlrev_b32_e32 v26, 3, v27
	v_and_b32_e32 v27, 0xffff, v31
	s_wait_loadcnt 0x9
	s_delay_alu instid0(VALU_DEP_3) | instskip(SKIP_3) | instid1(VALU_DEP_4)
	v_dual_mul_f32 v109, v115, v51 :: v_dual_fmac_f32 v144, v96, v52
	v_mul_f32_e32 v108, v95, v49
	v_mul_f32_e32 v14, v94, v49
	;; [unrolled: 1-line block ×3, first 2 shown]
	v_dual_fmac_f32 v109, v114, v50 :: v_dual_mul_f32 v114, v117, v55
	s_delay_alu instid0(VALU_DEP_4) | instskip(NEXT) | instid1(VALU_DEP_4)
	v_fmac_f32_e32 v108, v94, v48
	v_fma_f32 v94, v95, v48, -v14
	v_mul_f32_e32 v14, v116, v55
	v_fma_f32 v95, v115, v50, -v40
	v_dual_fmac_f32 v114, v116, v54 :: v_dual_mul_f32 v115, v119, v71
	v_mul_f32_e32 v116, v123, v73
	v_mul_f32_e32 v41, v96, v53
	;; [unrolled: 1-line block ×3, first 2 shown]
	ds_load_2addr_b64 v[48:51], v57 offset0:192 offset1:252
	v_fmac_f32_e32 v115, v118, v70
	v_fmac_f32_e32 v116, v122, v72
	v_mul_f32_e32 v122, v125, v77
	v_fma_f32 v96, v97, v52, -v41
	v_fma_f32 v97, v117, v54, -v14
	v_mul_f32_e32 v14, v118, v71
	ds_load_2addr_b64 v[52:55], v63 offset0:40 offset1:100
	v_mul_f32_e32 v117, v121, v75
	v_mul_f32_e32 v41, v120, v75
	v_fma_f32 v118, v119, v70, -v14
	v_fma_f32 v119, v123, v72, -v40
	v_dual_mul_f32 v123, v111, v127 :: v_dual_add_nc_u32 v14, 0x3c00, v62
	v_mul_f32_e32 v40, v124, v77
	v_fmac_f32_e32 v117, v120, v74
	v_fma_f32 v120, v121, v74, -v41
	ds_load_2addr_b64 v[70:73], v64 offset0:144 offset1:204
	v_dual_fmac_f32 v122, v124, v76 :: v_dual_fmac_f32 v123, v110, v126
	v_fma_f32 v121, v125, v76, -v40
	ds_load_2addr_b64 v[74:77], v14 offset0:120 offset1:180
	s_wait_loadcnt 0x8
	v_dual_mul_f32 v40, v110, v127 :: v_dual_mul_f32 v41, v112, v129
	s_wait_loadcnt_dscnt 0x706
	v_mul_f32_e32 v125, v37, v131
	v_mul_f32_e32 v124, v113, v129
	s_wait_loadcnt_dscnt 0x504
	v_mul_f32_e32 v43, v45, v79
	v_fma_f32 v110, v111, v126, -v40
	v_dual_mul_f32 v40, v36, v131 :: v_dual_mul_f32 v111, v39, v133
	v_mul_f32_e32 v42, v44, v79
	s_wait_loadcnt_dscnt 0x402
	v_dual_mul_f32 v79, v48, v81 :: v_dual_mul_f32 v126, v53, v83
	v_fmac_f32_e32 v125, v36, v130
	v_fmac_f32_e32 v124, v112, v128
	v_fma_f32 v112, v113, v128, -v41
	v_mul_f32_e32 v41, v38, v133
	v_mul_f32_e32 v113, v49, v81
	v_fma_f32 v81, v37, v130, -v40
	v_mul_f32_e32 v37, v52, v83
	s_wait_loadcnt_dscnt 0x300
	v_dual_mul_f32 v127, v71, v85 :: v_dual_mul_f32 v40, v74, v135
	s_wait_loadcnt 0x2
	v_dual_fmac_f32 v111, v38, v132 :: v_dual_mul_f32 v36, v47, v87
	v_fma_f32 v83, v39, v132, -v41
	s_wait_loadcnt 0x1
	v_dual_mul_f32 v39, v70, v85 :: v_dual_mul_f32 v38, v55, v91
	v_mul_f32_e32 v128, v75, v135
	v_dual_mul_f32 v85, v46, v87 :: v_dual_fmac_f32 v126, v52, v82
	v_mul_f32_e32 v41, v51, v89
	v_fma_f32 v129, v45, v78, -v42
	s_delay_alu instid0(VALU_DEP_4)
	v_dual_fmac_f32 v128, v74, v134 :: v_dual_fmac_f32 v113, v48, v80
	v_fmac_f32_e32 v36, v46, v86
	v_fma_f32 v130, v49, v80, -v79
	v_dual_mul_f32 v42, v50, v89 :: v_dual_fmac_f32 v43, v44, v78
	v_add_f32_e32 v52, v138, v143
	v_dual_mul_f32 v45, v54, v91 :: v_dual_mul_f32 v48, v72, v93
	v_mul_f32_e32 v44, v73, v93
	s_wait_loadcnt 0x0
	v_mul_f32_e32 v49, v76, v137
	v_fma_f32 v131, v53, v82, -v37
	v_dual_fmac_f32 v127, v70, v84 :: v_dual_add_f32 v46, v8, v139
	v_fma_f32 v132, v71, v84, -v39
	v_dual_mul_f32 v39, v77, v137 :: v_dual_fmac_f32 v38, v54, v90
	v_fma_f32 v133, v75, v134, -v40
	v_fma_f32 v37, v47, v86, -v85
	v_dual_fmac_f32 v41, v50, v88 :: v_dual_add_f32 v50, v99, v106
	v_fma_f32 v134, v51, v88, -v42
	v_fma_f32 v42, v55, v90, -v45
	v_dual_fmac_f32 v44, v72, v92 :: v_dual_add_f32 v47, v139, v101
	v_fma_f32 v45, v73, v92, -v48
	v_sub_f32_e32 v48, v99, v106
	v_fma_f32 v40, v77, v136, -v49
	v_dual_add_f32 v49, v9, v99 :: v_dual_add_f32 v70, v102, v110
	v_dual_add_f32 v53, v140, v102 :: v_dual_add_f32 v46, v46, v101
	v_dual_fmac_f32 v39, v76, v136 :: v_dual_add_f32 v54, v143, v123
	v_sub_f32_e32 v51, v139, v101
	v_dual_sub_f32 v55, v102, v110 :: v_dual_sub_f32 v72, v100, v105
	v_sub_f32_e32 v71, v143, v123
	v_fma_f32 v75, -0.5, v47, v8
	v_dual_add_f32 v47, v49, v106 :: v_dual_add_f32 v74, v100, v105
	v_fma_f32 v77, -0.5, v50, v9
	v_dual_add_f32 v49, v52, v123 :: v_dual_add_f32 v82, v142, v104
	v_add_f32_e32 v50, v53, v110
	v_dual_add_f32 v52, v10, v141 :: v_dual_add_f32 v53, v141, v107
	v_sub_f32_e32 v80, v104, v112
	v_dual_add_f32 v73, v11, v100 :: v_dual_sub_f32 v76, v141, v107
	v_dual_add_f32 v78, v98, v103 :: v_dual_add_f32 v79, v103, v124
	v_dual_add_f32 v84, v104, v112 :: v_dual_add_f32 v89, v5, v95
	v_dual_sub_f32 v85, v103, v124 :: v_dual_add_f32 v86, v4, v109
	v_dual_add_f32 v87, v109, v116 :: v_dual_sub_f32 v88, v95, v119
	v_dual_add_f32 v90, v95, v119 :: v_dual_sub_f32 v91, v109, v116
	v_dual_add_f32 v92, v108, v115 :: v_dual_add_f32 v93, v115, v125
	v_sub_f32_e32 v95, v118, v81
	v_dual_add_f32 v99, v94, v118 :: v_dual_sub_f32 v104, v97, v121
	v_add_f32_e32 v100, v118, v81
	v_dual_sub_f32 v101, v115, v125 :: v_dual_add_f32 v102, v6, v114
	v_dual_add_f32 v103, v114, v122 :: v_dual_add_f32 v106, v7, v97
	v_dual_add_f32 v97, v97, v121 :: v_dual_add_f32 v118, v96, v120
	v_sub_f32_e32 v115, v120, v83
	v_dual_add_f32 v120, v120, v83 :: v_dual_sub_f32 v109, v114, v122
	v_add_f32_e32 v110, v144, v117
	v_add_f32_e32 v114, v117, v111
	v_dual_sub_f32 v117, v117, v111 :: v_dual_fmac_f32 v138, -0.5, v54
	v_dual_fmac_f32 v140, -0.5, v70 :: v_dual_fmamk_f32 v123, v48, 0xbf5db3d7, v75
	v_fmac_f32_e32 v75, 0x3f5db3d7, v48
	v_dual_fmamk_f32 v135, v51, 0x3f5db3d7, v77 :: v_dual_add_f32 v8, v46, v49
	v_dual_fmac_f32 v77, 0xbf5db3d7, v51 :: v_dual_sub_f32 v46, v46, v49
	v_dual_add_f32 v9, v47, v50 :: v_dual_add_f32 v48, v52, v107
	v_fma_f32 v10, -0.5, v53, v10
	v_dual_add_f32 v49, v73, v105 :: v_dual_fmac_f32 v98, -0.5, v79
	v_dual_fmac_f32 v11, -0.5, v74 :: v_dual_fmac_f32 v142, -0.5, v84
	v_dual_add_f32 v51, v82, v112 :: v_dual_add_f32 v54, v92, v125
	v_fma_f32 v107, -0.5, v90, v5
	v_dual_fmac_f32 v94, -0.5, v100 :: v_dual_fmac_f32 v7, -0.5, v97
	s_delay_alu instid0(VALU_DEP_3)
	v_dual_fmac_f32 v96, -0.5, v120 :: v_dual_add_f32 v5, v49, v51
	v_dual_sub_f32 v47, v47, v50 :: v_dual_add_f32 v50, v78, v124
	v_dual_add_f32 v52, v86, v116 :: v_dual_add_f32 v53, v89, v119
	v_fma_f32 v105, -0.5, v87, v4
	v_fmac_f32_e32 v108, -0.5, v93
	v_dual_add_f32 v70, v99, v81 :: v_dual_add_f32 v97, v110, v111
	v_add_f32_e32 v99, v102, v122
	v_dual_add_f32 v100, v106, v121 :: v_dual_fmamk_f32 v73, v55, 0xbf5db3d7, v138
	v_fmac_f32_e32 v144, -0.5, v114
	v_add_f32_e32 v102, v118, v83
	v_dual_fmamk_f32 v74, v71, 0x3f5db3d7, v140 :: v_dual_sub_f32 v49, v49, v51
	v_dual_fmac_f32 v140, 0xbf5db3d7, v71 :: v_dual_fmamk_f32 v89, v88, 0xbf5db3d7, v105
	v_fmamk_f32 v82, v72, 0xbf5db3d7, v10
	v_dual_fmac_f32 v10, 0x3f5db3d7, v72 :: v_dual_add_f32 v51, v53, v70
	v_fmamk_f32 v83, v76, 0x3f5db3d7, v11
	v_fmac_f32_e32 v11, 0xbf5db3d7, v76
	v_fmamk_f32 v72, v85, 0x3f5db3d7, v142
	v_dual_fmamk_f32 v92, v91, 0x3f5db3d7, v107 :: v_dual_fmamk_f32 v79, v117, 0x3f5db3d7, v96
	v_fmamk_f32 v78, v101, 0x3f5db3d7, v94
	v_fma_f32 v6, -0.5, v103, v6
	v_dual_fmac_f32 v138, 0x3f5db3d7, v55 :: v_dual_fmac_f32 v105, 0x3f5db3d7, v88
	v_fmamk_f32 v71, v80, 0xbf5db3d7, v98
	v_dual_fmac_f32 v98, 0x3f5db3d7, v80 :: v_dual_sub_f32 v53, v53, v70
	v_dual_fmac_f32 v142, 0xbf5db3d7, v85 :: v_dual_mul_f32 v81, 0xbf5db3d7, v140
	v_dual_add_f32 v4, v48, v50 :: v_dual_fmamk_f32 v103, v109, 0x3f5db3d7, v7
	v_dual_sub_f32 v48, v48, v50 :: v_dual_fmac_f32 v7, 0xbf5db3d7, v109
	v_dual_fmac_f32 v107, 0xbf5db3d7, v91 :: v_dual_fmac_f32 v94, 0xbf5db3d7, v101
	s_delay_alu instid0(VALU_DEP_4)
	v_mul_f32_e32 v87, 0xbf5db3d7, v142
	v_add_f32_e32 v55, v100, v102
	v_dual_mul_f32 v109, 0.5, v79 :: v_dual_fmamk_f32 v70, v115, 0xbf5db3d7, v144
	v_dual_mul_f32 v91, 0xbf5db3d7, v78 :: v_dual_mul_f32 v88, 0.5, v72
	v_dual_fmamk_f32 v76, v95, 0xbf5db3d7, v108 :: v_dual_mul_f32 v85, -0.5, v140
	v_dual_fmac_f32 v108, 0x3f5db3d7, v95 :: v_dual_mul_f32 v95, 0.5, v78
	s_delay_alu instid0(VALU_DEP_2)
	v_dual_add_f32 v50, v52, v54 :: v_dual_fmac_f32 v91, 0.5, v76
	v_dual_fmamk_f32 v101, v104, 0xbf5db3d7, v6 :: v_dual_mul_f32 v80, 0xbf5db3d7, v74
	v_dual_fmac_f32 v96, 0xbf5db3d7, v117 :: v_dual_mul_f32 v93, 0xbf5db3d7, v94
	v_sub_f32_e32 v52, v52, v54
	v_add_f32_e32 v54, v99, v97
	v_dual_mul_f32 v84, 0.5, v74 :: v_dual_fmac_f32 v95, 0x3f5db3d7, v76
	v_dual_fmac_f32 v109, 0x3f5db3d7, v70 :: v_dual_fmac_f32 v88, 0x3f5db3d7, v71
	v_dual_fmac_f32 v6, 0x3f5db3d7, v104 :: v_dual_fmac_f32 v81, -0.5, v138
	v_dual_fmac_f32 v144, 0x3f5db3d7, v115 :: v_dual_fmac_f32 v85, 0x3f5db3d7, v138
	v_dual_mul_f32 v86, 0xbf5db3d7, v72 :: v_dual_fmac_f32 v87, -0.5, v98
	v_fmac_f32_e32 v80, 0.5, v73
	v_fmac_f32_e32 v84, 0x3f5db3d7, v73
	v_dual_mul_f32 v104, 0xbf5db3d7, v79 :: v_dual_add_f32 v79, v83, v88
	v_dual_sub_f32 v83, v83, v88 :: v_dual_mul_f32 v90, -0.5, v142
	v_dual_mul_f32 v94, -0.5, v94 :: v_dual_add_f32 v73, v77, v85
	v_dual_mul_f32 v106, 0xbf5db3d7, v96 :: v_dual_sub_f32 v77, v77, v85
	v_dual_fmac_f32 v86, 0.5, v71 :: v_dual_add_f32 v71, v135, v84
	s_delay_alu instid0(VALU_DEP_4) | instskip(SKIP_4) | instid1(VALU_DEP_4)
	v_dual_fmac_f32 v90, 0x3f5db3d7, v98 :: v_dual_add_f32 v85, v92, v95
	v_mul_f32_e32 v110, -0.5, v96
	v_dual_fmac_f32 v93, -0.5, v108 :: v_dual_add_f32 v72, v75, v81
	v_sub_f32_e32 v76, v75, v81
	v_dual_sub_f32 v75, v135, v84 :: v_dual_fmac_f32 v104, 0.5, v70
	v_dual_add_f32 v81, v11, v90 :: v_dual_fmac_f32 v110, 0x3f5db3d7, v144
	v_dual_sub_f32 v96, v99, v97 :: v_dual_sub_f32 v97, v100, v102
	v_add_f32_e32 v100, v113, v127
	v_add_f32_e32 v102, v130, v132
	v_fmac_f32_e32 v94, 0x3f5db3d7, v108
	v_add_f32_e32 v70, v123, v80
	v_sub_f32_e32 v11, v11, v90
	v_dual_add_f32 v78, v82, v86 :: v_dual_sub_f32 v99, v103, v109
	v_sub_f32_e32 v82, v82, v86
	v_add_f32_e32 v84, v89, v91
	v_add_f32_e32 v86, v105, v93
	v_sub_f32_e32 v90, v105, v93
	v_dual_add_f32 v93, v103, v109 :: v_dual_sub_f32 v98, v101, v104
	v_fma_f32 v105, -0.5, v100, v0
	v_add_f32_e32 v100, v1, v130
	v_fma_f32 v109, -0.5, v102, v1
	v_sub_f32_e32 v1, v113, v127
	v_sub_f32_e32 v88, v89, v91
	v_dual_sub_f32 v89, v92, v95 :: v_dual_add_f32 v92, v101, v104
	v_dual_add_f32 v101, v0, v113 :: v_dual_fmac_f32 v106, -0.5, v144
	v_sub_f32_e32 v91, v107, v94
	v_sub_f32_e32 v74, v123, v80
	v_dual_add_f32 v80, v10, v87 :: v_dual_add_f32 v95, v7, v110
	v_dual_sub_f32 v10, v10, v87 :: v_dual_sub_f32 v7, v7, v110
	v_fmamk_f32 v110, v1, 0x3f5db3d7, v109
	v_add_f32_e32 v104, v101, v127
	v_add_f32_e32 v101, v129, v131
	;; [unrolled: 1-line block ×4, first 2 shown]
	v_dual_sub_f32 v6, v6, v106 :: v_dual_add_f32 v107, v100, v132
	s_delay_alu instid0(VALU_DEP_4)
	v_dual_add_f32 v113, v101, v133 :: v_dual_sub_f32 v0, v130, v132
	v_dual_fmac_f32 v109, 0xbf5db3d7, v1 :: v_dual_add_f32 v100, v126, v128
	v_add_f32_e32 v102, v43, v126
	global_wb scope:SCOPE_SE
	v_fmamk_f32 v106, v0, 0xbf5db3d7, v105
	v_dual_fmac_f32 v105, 0x3f5db3d7, v0 :: v_dual_add_f32 v0, v131, v133
	v_dual_fmac_f32 v43, -0.5, v100 :: v_dual_sub_f32 v100, v131, v133
	v_add_f32_e32 v108, v102, v128
	s_barrier_signal -1
	s_delay_alu instid0(VALU_DEP_3)
	v_fmac_f32_e32 v129, -0.5, v0
	v_sub_f32_e32 v0, v126, v128
	v_fmamk_f32 v102, v100, 0xbf5db3d7, v43
	v_fmac_f32_e32 v43, 0x3f5db3d7, v100
	s_barrier_wait -1
	global_inv scope:SCOPE_SE
	v_fmamk_f32 v1, v0, 0x3f5db3d7, v129
	v_fmac_f32_e32 v129, 0xbf5db3d7, v0
	ds_store_2addr_b64 v25, v[8:9], v[70:71] offset1:10
	v_add3_u32 v8, 0, v24, v26
	v_mul_u32_u24_e32 v9, 0x1e0, v27
	v_mul_f32_e32 v111, 0xbf5db3d7, v1
	v_mul_f32_e32 v112, 0xbf5db3d7, v129
	v_mul_f32_e32 v114, 0.5, v1
	v_mul_f32_e32 v115, -0.5, v129
	v_add_f32_e32 v1, v107, v113
	s_delay_alu instid0(VALU_DEP_4) | instskip(NEXT) | instid1(VALU_DEP_3)
	v_dual_fmac_f32 v111, 0.5, v102 :: v_dual_fmac_f32 v112, -0.5, v43
	v_dual_fmac_f32 v114, 0x3f5db3d7, v102 :: v_dual_fmac_f32 v115, 0x3f5db3d7, v43
	v_add_f32_e32 v43, v41, v44
	v_lshlrev_b32_e32 v24, 3, v32
	s_delay_alu instid0(VALU_DEP_4)
	v_add_f32_e32 v102, v105, v112
	ds_store_2addr_b64 v25, v[72:73], v[46:47] offset0:20 offset1:30
	ds_store_2addr_b64 v25, v[74:75], v[76:77] offset0:40 offset1:50
	v_add_f32_e32 v103, v109, v115
	v_add_f32_e32 v100, v106, v111
	v_sub_f32_e32 v106, v106, v111
	v_add_f32_e32 v111, v134, v45
	v_dual_add_f32 v101, v110, v114 :: v_dual_add_f32 v0, v104, v108
	v_sub_f32_e32 v104, v104, v108
	v_dual_sub_f32 v108, v105, v112 :: v_dual_sub_f32 v105, v107, v113
	v_sub_f32_e32 v107, v110, v114
	v_add_f32_e32 v110, v2, v41
	v_fma_f32 v2, -0.5, v43, v2
	v_sub_f32_e32 v43, v134, v45
	v_sub_f32_e32 v41, v41, v44
	s_delay_alu instid0(VALU_DEP_4) | instskip(SKIP_1) | instid1(VALU_DEP_4)
	v_dual_add_f32 v113, v37, v42 :: v_dual_add_f32 v110, v110, v44
	v_add_f32_e32 v112, v3, v134
	v_fmamk_f32 v44, v43, 0xbf5db3d7, v2
	v_dual_fmac_f32 v2, 0x3f5db3d7, v43 :: v_dual_add_f32 v43, v42, v40
	v_fmac_f32_e32 v3, -0.5, v111
	s_delay_alu instid0(VALU_DEP_4) | instskip(SKIP_1) | instid1(VALU_DEP_4)
	v_dual_add_f32 v45, v112, v45 :: v_dual_add_f32 v112, v38, v39
	v_sub_f32_e32 v109, v109, v115
	v_fmac_f32_e32 v37, -0.5, v43
	v_sub_f32_e32 v43, v38, v39
	v_fmamk_f32 v111, v41, 0x3f5db3d7, v3
	v_dual_fmac_f32 v3, 0xbf5db3d7, v41 :: v_dual_sub_f32 v42, v42, v40
	v_add_f32_e32 v113, v113, v40
	s_delay_alu instid0(VALU_DEP_4)
	v_fmamk_f32 v41, v43, 0x3f5db3d7, v37
	v_fmac_f32_e32 v37, 0xbf5db3d7, v43
	v_and_b32_e32 v25, 0xffff, v28
	ds_store_2addr_b64 v8, v[4:5], v[78:79] offset1:10
	v_add3_u32 v4, 0, v9, v24
	v_dual_mul_f32 v115, 0.5, v41 :: v_dual_add_f32 v38, v36, v38
	v_fmac_f32_e32 v36, -0.5, v112
	v_mul_f32_e32 v116, -0.5, v37
	v_mul_f32_e32 v112, 0xbf5db3d7, v41
	s_delay_alu instid0(VALU_DEP_4) | instskip(NEXT) | instid1(VALU_DEP_4)
	v_dual_mul_f32 v114, 0xbf5db3d7, v37 :: v_dual_add_f32 v43, v38, v39
	v_fmamk_f32 v38, v42, 0xbf5db3d7, v36
	ds_store_2addr_b64 v8, v[80:81], v[48:49] offset0:20 offset1:30
	ds_store_2addr_b64 v8, v[82:83], v[10:11] offset0:40 offset1:50
	v_mul_u32_u24_e32 v5, 0x1e0, v25
	v_lshlrev_b32_e32 v8, 3, v29
	v_mul_u32_u24_e32 v9, 0x1e0, v30
	v_dual_fmac_f32 v115, 0x3f5db3d7, v38 :: v_dual_lshlrev_b32 v10, 3, v35
	ds_store_2addr_b64 v4, v[50:51], v[84:85] offset1:10
	ds_store_2addr_b64 v4, v[86:87], v[52:53] offset0:20 offset1:30
	v_add3_u32 v5, 0, v5, v8
	ds_store_2addr_b64 v4, v[88:89], v[90:91] offset0:40 offset1:50
	v_add_f32_e32 v40, v111, v115
	v_dual_sub_f32 v111, v111, v115 :: v_dual_fmac_f32 v36, 0x3f5db3d7, v42
	v_mul_u32_u24_e32 v4, 0x1e0, v33
	v_lshlrev_b32_e32 v8, 3, v34
	v_add3_u32 v9, 0, v9, v10
	s_delay_alu instid0(VALU_DEP_4)
	v_dual_add_f32 v37, v110, v43 :: v_dual_fmac_f32 v116, 0x3f5db3d7, v36
	v_fmac_f32_e32 v114, -0.5, v36
	ds_store_2addr_b64 v5, v[54:55], v[92:93] offset1:10
	ds_store_2addr_b64 v5, v[94:95], v[96:97] offset0:20 offset1:30
	ds_store_2addr_b64 v5, v[98:99], v[6:7] offset0:40 offset1:50
	v_add3_u32 v4, 0, v4, v8
	ds_store_2addr_b64 v9, v[0:1], v[100:101] offset1:10
	ds_store_2addr_b64 v9, v[102:103], v[104:105] offset0:20 offset1:30
	ds_store_2addr_b64 v9, v[106:107], v[108:109] offset0:40 offset1:50
	v_add_f32_e32 v42, v3, v116
	v_dual_sub_f32 v3, v3, v116 :: v_dual_fmac_f32 v112, 0.5, v38
	v_dual_add_f32 v41, v2, v114 :: v_dual_add_f32 v38, v45, v113
	v_mul_u32_u24_e32 v0, 5, v56
	v_sub_f32_e32 v43, v110, v43
	s_delay_alu instid0(VALU_DEP_4)
	v_add_f32_e32 v39, v44, v112
	v_sub_f32_e32 v110, v44, v112
	v_sub_f32_e32 v44, v45, v113
	;; [unrolled: 1-line block ×3, first 2 shown]
	ds_store_2addr_b64 v4, v[37:38], v[39:40] offset1:10
	ds_store_2addr_b64 v4, v[41:42], v[43:44] offset0:20 offset1:30
	ds_store_2addr_b64 v4, v[110:111], v[2:3] offset0:40 offset1:50
	v_lshlrev_b32_e32 v4, 3, v0
	v_mul_lo_u16 v0, 0x89, v23
	v_mul_lo_u16 v1, 0x89, v20
	global_wb scope:SCOPE_SE
	s_wait_dscnt 0x0
	s_barrier_signal -1
	s_barrier_wait -1
	v_lshrrev_b16 v0, 13, v0
	v_lshrrev_b16 v1, 13, v1
	global_inv scope:SCOPE_SE
	s_clause 0x1
	global_load_b128 v[23:26], v4, s[8:9] offset:400
	global_load_b128 v[27:30], v4, s[8:9] offset:416
	v_mul_lo_u16 v0, v0, 60
	v_mul_lo_u16 v1, v1, 60
	v_mul_u32_u24_e32 v2, 0x8889, v21
	v_mul_u32_u24_e32 v3, 0x8889, v22
	s_delay_alu instid0(VALU_DEP_4) | instskip(NEXT) | instid1(VALU_DEP_3)
	v_sub_nc_u16 v0, v17, v0
	v_lshrrev_b32_e32 v2, 21, v2
	s_delay_alu instid0(VALU_DEP_3) | instskip(NEXT) | instid1(VALU_DEP_3)
	v_lshrrev_b32_e32 v3, 21, v3
	v_and_b32_e32 v6, 0xff, v0
	v_sub_nc_u16 v0, v19, v1
	s_delay_alu instid0(VALU_DEP_4) | instskip(NEXT) | instid1(VALU_DEP_3)
	v_mul_lo_u16 v2, v2, 60
	v_mul_u32_u24_e32 v1, 5, v6
	s_delay_alu instid0(VALU_DEP_3) | instskip(NEXT) | instid1(VALU_DEP_3)
	v_and_b32_e32 v5, 0xff, v0
	v_sub_nc_u16 v2, v16, v2
	s_delay_alu instid0(VALU_DEP_3) | instskip(NEXT) | instid1(VALU_DEP_3)
	v_lshlrev_b32_e32 v0, 3, v1
	v_mul_u32_u24_e32 v1, 5, v5
	s_clause 0x2
	global_load_b64 v[10:11], v4, s[8:9] offset:432
	global_load_b128 v[31:34], v0, s[8:9] offset:400
	global_load_b128 v[19:22], v0, s[8:9] offset:416
	v_lshlrev_b32_e32 v1, 3, v1
	v_lshl_add_u32 v5, v5, 3, 0
	s_clause 0x2
	global_load_b128 v[35:38], v1, s[8:9] offset:400
	global_load_b64 v[16:17], v0, s[8:9] offset:432
	global_load_b128 v[39:42], v1, s[8:9] offset:416
	v_mul_lo_u16 v0, v3, 60
	v_and_b32_e32 v8, 0xffff, v2
	global_load_b64 v[134:135], v1, s[8:9] offset:432
	v_sub_nc_u16 v0, v18, v0
	v_mul_u32_u24_e32 v2, 5, v8
	s_delay_alu instid0(VALU_DEP_2) | instskip(NEXT) | instid1(VALU_DEP_2)
	v_and_b32_e32 v7, 0xffff, v0
	v_lshlrev_b32_e32 v2, 3, v2
	s_delay_alu instid0(VALU_DEP_2)
	v_mul_u32_u24_e32 v0, 5, v7
	s_clause 0x1
	global_load_b128 v[43:46], v2, s[8:9] offset:400
	global_load_b128 v[47:50], v2, s[8:9] offset:416
	v_lshlrev_b32_e32 v0, 3, v0
	s_clause 0x3
	global_load_b64 v[136:137], v2, s[8:9] offset:432
	global_load_b128 v[51:54], v0, s[8:9] offset:400
	global_load_b128 v[70:73], v0, s[8:9] offset:416
	global_load_b64 v[138:139], v0, s[8:9] offset:432
	ds_load_2addr_b64 v[74:77], v67 offset0:104 offset1:164
	ds_load_2addr_b64 v[78:81], v13 offset0:80 offset1:140
	ds_load_2addr_b64 v[82:85], v62 offset1:60
	ds_load_2addr_b64 v[86:89], v68 offset0:56 offset1:116
	ds_load_2addr_b64 v[90:93], v63 offset0:160 offset1:220
	;; [unrolled: 1-line block ×13, first 2 shown]
	s_wait_loadcnt_dscnt 0xe0f
	v_mul_f32_e32 v18, v24, v75
	v_mul_f32_e32 v9, v24, v74
	s_wait_dscnt 0xe
	v_dual_mul_f32 v55, v26, v79 :: v_dual_mul_f32 v140, v77, v24
	v_dual_mul_f32 v24, v76, v24 :: v_dual_mul_f32 v141, v26, v78
	v_fmac_f32_e32 v18, v23, v74
	v_fma_f32 v74, v23, v75, -v9
	v_mul_f32_e32 v9, v80, v26
	s_delay_alu instid0(VALU_DEP_4)
	v_fma_f32 v75, v77, v23, -v24
	v_mul_f32_e32 v77, v81, v26
	v_fmac_f32_e32 v55, v25, v78
	v_fma_f32 v78, v25, v79, -v141
	v_fma_f32 v79, v81, v25, -v9
	s_wait_loadcnt_dscnt 0xd0b
	v_mul_f32_e32 v9, v90, v30
	v_mul_f32_e32 v81, v89, v28
	v_dual_mul_f32 v141, v93, v30 :: v_dual_fmac_f32 v140, v76, v23
	v_mul_f32_e32 v76, v87, v28
	v_mul_f32_e32 v23, v86, v28
	v_dual_fmac_f32 v77, v80, v25 :: v_dual_mul_f32 v80, v91, v30
	v_mul_f32_e32 v24, v88, v28
	v_mul_f32_e32 v28, v92, v30
	v_fmac_f32_e32 v81, v88, v27
	v_fma_f32 v88, v91, v29, -v9
	v_fmac_f32_e32 v141, v92, v29
	s_wait_loadcnt_dscnt 0xb08
	v_mul_f32_e32 v91, v103, v32
	v_mul_f32_e32 v9, v102, v32
	s_wait_dscnt 0x7
	v_mul_f32_e32 v32, v106, v34
	s_delay_alu instid0(VALU_DEP_3) | instskip(NEXT) | instid1(VALU_DEP_3)
	v_fmac_f32_e32 v91, v102, v31
	v_fma_f32 v102, v103, v31, -v9
	s_wait_loadcnt_dscnt 0x705
	v_mul_f32_e32 v143, v117, v42
	v_mul_f32_e32 v92, v107, v34
	v_fma_f32 v103, v107, v33, -v32
	v_mul_f32_e32 v9, v104, v36
	v_mul_f32_e32 v31, v94, v11
	v_fmac_f32_e32 v143, v116, v41
	v_dual_fmac_f32 v92, v106, v33 :: v_dual_mul_f32 v33, v116, v42
	v_fmac_f32_e32 v76, v86, v27
	v_fma_f32 v86, v87, v27, -v23
	v_fma_f32 v87, v89, v27, -v24
	;; [unrolled: 1-line block ×3, first 2 shown]
	v_mul_f32_e32 v93, v105, v36
	ds_load_2addr_b64 v[23:26], v64 offset0:144 offset1:204
	v_mul_f32_e32 v106, v109, v38
	v_mul_f32_e32 v32, v97, v11
	v_fma_f32 v116, v117, v41, -v33
	v_fmac_f32_e32 v93, v104, v35
	v_fma_f32 v104, v105, v35, -v9
	v_mul_f32_e32 v105, v111, v20
	v_dual_mul_f32 v9, v108, v38 :: v_dual_mul_f32 v20, v110, v20
	v_fma_f32 v31, v95, v10, -v31
	s_wait_loadcnt_dscnt 0x203
	v_mul_f32_e32 v35, v124, v52
	v_fmac_f32_e32 v105, v110, v19
	v_fmac_f32_e32 v80, v90, v29
	ds_load_2addr_b64 v[27:30], v14 offset0:120 offset1:180
	v_mul_f32_e32 v90, v95, v11
	v_mul_f32_e32 v11, v96, v11
	v_fmac_f32_e32 v106, v108, v37
	v_fma_f32 v107, v109, v37, -v9
	v_mul_f32_e32 v108, v115, v22
	v_mul_f32_e32 v9, v114, v22
	;; [unrolled: 1-line block ×3, first 2 shown]
	v_dual_mul_f32 v17, v118, v17 :: v_dual_mul_f32 v142, v113, v40
	v_mul_f32_e32 v22, v112, v40
	v_fma_f32 v42, v111, v19, -v20
	v_fma_f32 v110, v115, v21, -v9
	v_mul_f32_e32 v111, v121, v135
	v_mul_f32_e32 v19, v120, v135
	s_wait_dscnt 0x1
	v_mul_f32_e32 v33, v23, v50
	v_fmac_f32_e32 v32, v96, v10
	v_fma_f32 v37, v97, v10, -v11
	v_fma_f32 v41, v119, v16, -v17
	v_add_f32_e32 v17, v55, v80
	s_wait_dscnt 0x0
	v_mul_f32_e32 v135, v28, v137
	s_wait_loadcnt 0x0
	v_mul_f32_e32 v11, v30, v139
	v_dual_fmac_f32 v142, v112, v39 :: v_dual_fmac_f32 v109, v118, v16
	v_fma_f32 v112, v113, v39, -v22
	s_delay_alu instid0(VALU_DEP_3) | instskip(SKIP_4) | instid1(VALU_DEP_4)
	v_dual_mul_f32 v34, v27, v137 :: v_dual_fmac_f32 v11, v29, v138
	v_mul_f32_e32 v137, v129, v54
	v_mul_f32_e32 v39, v25, v73
	v_dual_fmac_f32 v108, v114, v21 :: v_dual_fmac_f32 v111, v120, v134
	v_mul_f32_e32 v21, v126, v46
	v_dual_fmac_f32 v90, v94, v10 :: v_dual_fmac_f32 v137, v128, v53
	v_dual_mul_f32 v10, v133, v71 :: v_dual_mul_f32 v115, v131, v48
	v_dual_mul_f32 v114, v123, v44 :: v_dual_mul_f32 v117, v24, v50
	v_mul_f32_e32 v20, v122, v44
	v_mul_f32_e32 v9, v125, v52
	;; [unrolled: 1-line block ×3, first 2 shown]
	v_dual_mul_f32 v36, v128, v54 :: v_dual_fmac_f32 v135, v27, v136
	v_mul_f32_e32 v38, v132, v71
	v_fma_f32 v54, v121, v134, -v19
	v_fma_f32 v96, v127, v45, -v21
	;; [unrolled: 1-line block ×3, first 2 shown]
	v_add_f32_e32 v19, v82, v55
	v_mul_f32_e32 v94, v26, v73
	v_dual_add_f32 v21, v78, v88 :: v_dual_fmac_f32 v10, v132, v70
	v_fma_f32 v24, -0.5, v17, v82
	v_add_f32_e32 v17, v83, v78
	v_mul_f32_e32 v113, v127, v46
	v_fmac_f32_e32 v115, v130, v47
	v_dual_fmac_f32 v114, v122, v43 :: v_dual_fmac_f32 v117, v23, v49
	v_fma_f32 v95, v123, v43, -v20
	v_fma_f32 v119, v28, v136, -v34
	v_fmac_f32_e32 v9, v124, v51
	v_fma_f32 v97, v131, v47, -v22
	v_fma_f32 v122, v26, v72, -v39
	v_sub_f32_e32 v20, v78, v88
	v_sub_f32_e32 v22, v55, v80
	v_add_f32_e32 v23, v19, v80
	v_dual_fmac_f32 v94, v25, v72 :: v_dual_add_f32 v19, v86, v31
	v_fma_f32 v28, -0.5, v21, v83
	v_dual_add_f32 v26, v17, v88 :: v_dual_add_f32 v17, v76, v90
	v_dual_mul_f32 v40, v29, v139 :: v_dual_fmamk_f32 v25, v20, 0xbf5db3d7, v24
	v_add_f32_e32 v21, v18, v76
	v_fma_f32 v16, v125, v51, -v35
	s_delay_alu instid0(VALU_DEP_4) | instskip(SKIP_1) | instid1(VALU_DEP_4)
	v_fmac_f32_e32 v18, -0.5, v17
	v_dual_fmac_f32 v24, 0x3f5db3d7, v20 :: v_dual_sub_f32 v17, v86, v31
	v_add_f32_e32 v27, v21, v90
	v_add_f32_e32 v20, v74, v86
	v_dual_fmac_f32 v74, -0.5, v19 :: v_dual_sub_f32 v19, v76, v90
	v_fmamk_f32 v29, v22, 0x3f5db3d7, v28
	v_fmac_f32_e32 v28, 0xbf5db3d7, v22
	v_fma_f32 v123, v30, v138, -v40
	v_fma_f32 v120, v129, v53, -v36
	v_fmamk_f32 v22, v19, 0x3f5db3d7, v74
	v_fmac_f32_e32 v74, 0xbf5db3d7, v19
	v_fmamk_f32 v19, v17, 0xbf5db3d7, v18
	v_dual_fmac_f32 v18, 0x3f5db3d7, v17 :: v_dual_add_f32 v17, v23, v27
	v_add_f32_e32 v31, v20, v31
	s_delay_alu instid0(VALU_DEP_4) | instskip(SKIP_3) | instid1(VALU_DEP_3)
	v_mul_f32_e32 v35, -0.5, v74
	v_mul_f32_e32 v30, 0xbf5db3d7, v22
	v_dual_mul_f32 v34, 0.5, v22 :: v_dual_sub_f32 v23, v23, v27
	v_fma_f32 v121, v133, v70, -v38
	v_dual_fmac_f32 v35, 0x3f5db3d7, v18 :: v_dual_fmac_f32 v30, 0.5, v19
	s_delay_alu instid0(VALU_DEP_3) | instskip(NEXT) | instid1(VALU_DEP_2)
	v_dual_fmac_f32 v34, 0x3f5db3d7, v19 :: v_dual_fmac_f32 v113, v126, v45
	v_dual_add_f32 v51, v91, v105 :: v_dual_add_f32 v22, v28, v35
	s_delay_alu instid0(VALU_DEP_3) | instskip(SKIP_2) | instid1(VALU_DEP_4)
	v_add_f32_e32 v19, v25, v30
	v_mul_f32_e32 v33, 0xbf5db3d7, v74
	v_sub_f32_e32 v25, v25, v30
	v_add_f32_e32 v51, v51, v109
	v_lshl_add_u32 v6, v6, 3, 0
	v_lshl_add_u32 v8, v8, 3, 0
	v_dual_fmac_f32 v33, -0.5, v18 :: v_dual_add_f32 v18, v26, v31
	v_add_f32_e32 v20, v29, v34
	global_wb scope:SCOPE_SE
	s_barrier_signal -1
	v_sub_f32_e32 v27, v24, v33
	v_dual_add_f32 v21, v24, v33 :: v_dual_sub_f32 v24, v26, v31
	v_dual_sub_f32 v26, v29, v34 :: v_dual_add_f32 v29, v84, v77
	v_add_f32_e32 v31, v79, v89
	v_add_f32_e32 v30, v77, v141
	v_sub_f32_e32 v28, v28, v35
	v_add_f32_e32 v33, v75, v87
	v_add_f32_e32 v35, v29, v141
	;; [unrolled: 1-line block ×3, first 2 shown]
	v_fmac_f32_e32 v85, -0.5, v31
	v_fma_f32 v36, -0.5, v30, v84
	v_sub_f32_e32 v30, v79, v89
	v_add_f32_e32 v46, v33, v37
	v_add_f32_e32 v40, v29, v89
	;; [unrolled: 1-line block ×3, first 2 shown]
	s_delay_alu instid0(VALU_DEP_4) | instskip(SKIP_3) | instid1(VALU_DEP_3)
	v_dual_sub_f32 v31, v77, v141 :: v_dual_fmamk_f32 v38, v30, 0xbf5db3d7, v36
	v_fmac_f32_e32 v36, 0x3f5db3d7, v30
	v_add_f32_e32 v30, v87, v37
	s_barrier_wait -1
	v_fmamk_f32 v43, v31, 0x3f5db3d7, v85
	v_fmac_f32_e32 v85, 0xbf5db3d7, v31
	global_inv scope:SCOPE_SE
	v_dual_fmac_f32 v75, -0.5, v30 :: v_dual_sub_f32 v30, v81, v32
	v_add_f32_e32 v34, v140, v81
	v_fmac_f32_e32 v140, -0.5, v29
	ds_store_2addr_b64 v62, v[17:18], v[19:20] offset1:60
	v_fmamk_f32 v31, v30, 0x3f5db3d7, v75
	v_fmac_f32_e32 v75, 0xbf5db3d7, v30
	s_delay_alu instid0(VALU_DEP_2) | instskip(NEXT) | instid1(VALU_DEP_1)
	v_dual_sub_f32 v29, v87, v37 :: v_dual_mul_f32 v44, 0xbf5db3d7, v31
	v_dual_add_f32 v39, v34, v32 :: v_dual_fmamk_f32 v30, v29, 0xbf5db3d7, v140
	v_dual_fmac_f32 v140, 0x3f5db3d7, v29 :: v_dual_mul_f32 v47, 0.5, v31
	s_delay_alu instid0(VALU_DEP_4) | instskip(SKIP_1) | instid1(VALU_DEP_4)
	v_mul_f32_e32 v45, 0xbf5db3d7, v75
	v_mul_f32_e32 v48, -0.5, v75
	v_dual_fmac_f32 v44, 0.5, v30 :: v_dual_add_f32 v29, v35, v39
	v_sub_f32_e32 v35, v35, v39
	s_delay_alu instid0(VALU_DEP_4) | instskip(NEXT) | instid1(VALU_DEP_4)
	v_fmac_f32_e32 v45, -0.5, v140
	v_dual_fmac_f32 v47, 0x3f5db3d7, v30 :: v_dual_fmac_f32 v48, 0x3f5db3d7, v140
	s_delay_alu instid0(VALU_DEP_4) | instskip(SKIP_2) | instid1(VALU_DEP_4)
	v_dual_add_f32 v31, v38, v44 :: v_dual_add_f32 v30, v40, v46
	v_sub_f32_e32 v37, v38, v44
	v_add_f32_e32 v44, v92, v108
	v_dual_add_f32 v33, v36, v45 :: v_dual_add_f32 v32, v43, v47
	v_dual_add_f32 v34, v85, v48 :: v_dual_sub_f32 v39, v36, v45
	v_sub_f32_e32 v38, v43, v47
	v_dual_sub_f32 v36, v40, v46 :: v_dual_add_f32 v43, v98, v92
	v_dual_sub_f32 v40, v85, v48 :: v_dual_add_f32 v45, v103, v110
	v_fma_f32 v48, -0.5, v44, v98
	v_sub_f32_e32 v44, v103, v110
	s_delay_alu instid0(VALU_DEP_4)
	v_add_f32_e32 v47, v43, v108
	v_add_f32_e32 v43, v99, v103
	v_fma_f32 v52, -0.5, v45, v99
	v_sub_f32_e32 v45, v92, v108
	v_dual_fmamk_f32 v49, v44, 0xbf5db3d7, v48 :: v_dual_add_f32 v46, v102, v42
	v_fmac_f32_e32 v48, 0x3f5db3d7, v44
	v_add_f32_e32 v44, v42, v41
	v_dual_add_f32 v50, v43, v110 :: v_dual_add_f32 v43, v105, v109
	v_dual_fmamk_f32 v53, v45, 0x3f5db3d7, v52 :: v_dual_sub_f32 v42, v42, v41
	s_delay_alu instid0(VALU_DEP_3) | instskip(NEXT) | instid1(VALU_DEP_3)
	v_fmac_f32_e32 v102, -0.5, v44
	v_dual_sub_f32 v44, v105, v109 :: v_dual_fmac_f32 v91, -0.5, v43
	v_add_f32_e32 v71, v46, v41
	ds_store_2addr_b64 v62, v[21:22], v[23:24] offset0:120 offset1:180
	ds_store_2addr_b64 v65, v[25:26], v[27:28] offset0:112 offset1:172
	;; [unrolled: 1-line block ×5, first 2 shown]
	v_fmamk_f32 v43, v44, 0x3f5db3d7, v102
	v_fmac_f32_e32 v102, 0xbf5db3d7, v44
	v_fmamk_f32 v44, v42, 0xbf5db3d7, v91
	v_dual_fmac_f32 v91, 0x3f5db3d7, v42 :: v_dual_add_f32 v42, v50, v71
	s_delay_alu instid0(VALU_DEP_4) | instskip(SKIP_3) | instid1(VALU_DEP_4)
	v_mul_f32_e32 v72, 0.5, v43
	v_dual_fmac_f32 v52, 0xbf5db3d7, v45 :: v_dual_mul_f32 v55, 0xbf5db3d7, v43
	v_mul_f32_e32 v73, -0.5, v102
	v_dual_mul_f32 v70, 0xbf5db3d7, v102 :: v_dual_add_f32 v41, v47, v51
	v_fmac_f32_e32 v72, 0x3f5db3d7, v44
	s_delay_alu instid0(VALU_DEP_4) | instskip(NEXT) | instid1(VALU_DEP_4)
	v_fmac_f32_e32 v55, 0.5, v44
	v_fmac_f32_e32 v73, 0x3f5db3d7, v91
	s_delay_alu instid0(VALU_DEP_4) | instskip(NEXT) | instid1(VALU_DEP_4)
	v_fmac_f32_e32 v70, -0.5, v91
	v_dual_sub_f32 v47, v47, v51 :: v_dual_add_f32 v44, v53, v72
	s_delay_alu instid0(VALU_DEP_3)
	v_dual_add_f32 v43, v49, v55 :: v_dual_add_f32 v46, v52, v73
	v_dual_sub_f32 v49, v49, v55 :: v_dual_sub_f32 v52, v52, v73
	v_add_f32_e32 v55, v106, v143
	v_add_f32_e32 v45, v48, v70
	v_dual_sub_f32 v51, v48, v70 :: v_dual_add_f32 v70, v107, v116
	v_sub_f32_e32 v48, v50, v71
	v_dual_sub_f32 v50, v53, v72 :: v_dual_add_f32 v53, v100, v106
	v_sub_f32_e32 v71, v107, v116
	v_add_f32_e32 v72, v104, v112
	v_fma_f32 v55, -0.5, v55, v100
	v_add_f32_e32 v73, v93, v142
	s_delay_alu instid0(VALU_DEP_2) | instskip(SKIP_1) | instid1(VALU_DEP_3)
	v_dual_add_f32 v74, v53, v143 :: v_dual_fmamk_f32 v75, v71, 0xbf5db3d7, v55
	v_fmac_f32_e32 v55, 0x3f5db3d7, v71
	v_dual_add_f32 v71, v112, v54 :: v_dual_add_f32 v76, v73, v111
	s_delay_alu instid0(VALU_DEP_1) | instskip(SKIP_3) | instid1(VALU_DEP_1)
	v_dual_add_f32 v81, v72, v54 :: v_dual_fmac_f32 v104, -0.5, v71
	v_sub_f32_e32 v71, v142, v111
	v_add_f32_e32 v53, v101, v107
	v_dual_fmac_f32 v101, -0.5, v70 :: v_dual_sub_f32 v70, v106, v143
	v_fmamk_f32 v79, v70, 0x3f5db3d7, v101
	v_fmac_f32_e32 v101, 0xbf5db3d7, v70
	s_delay_alu instid0(VALU_DEP_4) | instskip(SKIP_1) | instid1(VALU_DEP_2)
	v_dual_fmamk_f32 v70, v71, 0x3f5db3d7, v104 :: v_dual_add_f32 v77, v53, v116
	v_fmac_f32_e32 v104, 0xbf5db3d7, v71
	v_dual_add_f32 v53, v142, v111 :: v_dual_mul_f32 v82, 0.5, v70
	v_mul_f32_e32 v78, 0xbf5db3d7, v70
	s_delay_alu instid0(VALU_DEP_2) | instskip(SKIP_2) | instid1(VALU_DEP_2)
	v_dual_mul_f32 v80, 0xbf5db3d7, v104 :: v_dual_fmac_f32 v93, -0.5, v53
	v_sub_f32_e32 v53, v112, v54
	v_mul_f32_e32 v83, -0.5, v104
	v_fmamk_f32 v71, v53, 0xbf5db3d7, v93
	s_delay_alu instid0(VALU_DEP_1) | instskip(NEXT) | instid1(VALU_DEP_1)
	v_fmac_f32_e32 v78, 0.5, v71
	v_dual_add_f32 v70, v75, v78 :: v_dual_fmac_f32 v93, 0x3f5db3d7, v53
	v_add_f32_e32 v53, v74, v76
	v_sub_f32_e32 v74, v74, v76
	v_sub_f32_e32 v76, v75, v78
	v_fmac_f32_e32 v82, 0x3f5db3d7, v71
	v_fmac_f32_e32 v80, -0.5, v93
	s_delay_alu instid0(VALU_DEP_1)
	v_add_f32_e32 v72, v55, v80
	v_sub_f32_e32 v78, v55, v80
	v_add_f32_e32 v80, v0, v113
	v_fmac_f32_e32 v83, 0x3f5db3d7, v93
	v_add_f32_e32 v71, v79, v82
	v_add_f32_e32 v55, v113, v117
	;; [unrolled: 1-line block ×5, first 2 shown]
	v_sub_f32_e32 v75, v77, v81
	v_add_f32_e32 v81, v96, v118
	v_fma_f32 v55, -0.5, v55, v0
	v_sub_f32_e32 v0, v96, v118
	v_dual_add_f32 v87, v80, v118 :: v_dual_add_f32 v80, v115, v135
	v_add_f32_e32 v73, v101, v83
	v_sub_f32_e32 v77, v79, v82
	v_fma_f32 v89, -0.5, v81, v1
	v_dual_sub_f32 v1, v113, v117 :: v_dual_add_f32 v82, v114, v115
	v_fmamk_f32 v85, v0, 0xbf5db3d7, v55
	v_dual_fmac_f32 v55, 0x3f5db3d7, v0 :: v_dual_add_f32 v0, v97, v119
	v_fmac_f32_e32 v114, -0.5, v80
	s_delay_alu instid0(VALU_DEP_4) | instskip(SKIP_3) | instid1(VALU_DEP_3)
	v_add_f32_e32 v86, v82, v135
	v_sub_f32_e32 v80, v97, v119
	v_sub_f32_e32 v79, v101, v83
	v_fmamk_f32 v90, v1, 0x3f5db3d7, v89
	v_dual_fmamk_f32 v82, v80, 0xbf5db3d7, v114 :: v_dual_add_f32 v81, v95, v97
	v_dual_fmac_f32 v95, -0.5, v0 :: v_dual_sub_f32 v0, v115, v135
	v_fmac_f32_e32 v89, 0xbf5db3d7, v1
	s_delay_alu instid0(VALU_DEP_2) | instskip(NEXT) | instid1(VALU_DEP_1)
	v_dual_fmac_f32 v114, 0x3f5db3d7, v80 :: v_dual_fmamk_f32 v1, v0, 0x3f5db3d7, v95
	v_dual_mul_f32 v88, 0xbf5db3d7, v1 :: v_dual_fmac_f32 v95, 0xbf5db3d7, v0
	v_add_f32_e32 v0, v84, v86
	v_sub_f32_e32 v84, v84, v86
	s_delay_alu instid0(VALU_DEP_3) | instskip(SKIP_1) | instid1(VALU_DEP_2)
	v_dual_fmac_f32 v88, 0.5, v82 :: v_dual_mul_f32 v91, 0xbf5db3d7, v95
	v_add_f32_e32 v92, v81, v119
	v_dual_mul_f32 v95, -0.5, v95 :: v_dual_sub_f32 v86, v85, v88
	s_delay_alu instid0(VALU_DEP_3) | instskip(SKIP_1) | instid1(VALU_DEP_4)
	v_dual_fmac_f32 v91, -0.5, v114 :: v_dual_add_f32 v80, v85, v88
	v_mul_f32_e32 v93, 0.5, v1
	v_add_f32_e32 v1, v87, v92
	v_dual_sub_f32 v85, v87, v92 :: v_dual_add_f32 v92, v16, v121
	v_fmac_f32_e32 v95, 0x3f5db3d7, v114
	s_delay_alu instid0(VALU_DEP_4) | instskip(NEXT) | instid1(VALU_DEP_3)
	v_fmac_f32_e32 v93, 0x3f5db3d7, v82
	v_add_f32_e32 v101, v92, v123
	s_delay_alu instid0(VALU_DEP_3) | instskip(NEXT) | instid1(VALU_DEP_3)
	v_add_f32_e32 v83, v89, v95
	v_add_f32_e32 v81, v90, v93
	v_sub_f32_e32 v87, v90, v93
	v_add_f32_e32 v90, v2, v137
	v_add_f32_e32 v82, v55, v91
	v_dual_sub_f32 v88, v55, v91 :: v_dual_add_f32 v55, v137, v94
	v_sub_f32_e32 v89, v89, v95
	v_add_f32_e32 v91, v120, v122
	s_delay_alu instid0(VALU_DEP_3) | instskip(SKIP_1) | instid1(VALU_DEP_1)
	v_fma_f32 v2, -0.5, v55, v2
	v_sub_f32_e32 v55, v120, v122
	v_fmamk_f32 v96, v55, 0xbf5db3d7, v2
	v_fmac_f32_e32 v2, 0x3f5db3d7, v55
	v_add_f32_e32 v55, v121, v123
	s_delay_alu instid0(VALU_DEP_1) | instskip(SKIP_2) | instid1(VALU_DEP_1)
	v_fmac_f32_e32 v16, -0.5, v55
	v_sub_f32_e32 v55, v10, v11
	v_dual_add_f32 v95, v90, v94 :: v_dual_add_f32 v90, v3, v120
	v_add_f32_e32 v97, v90, v122
	v_add_f32_e32 v90, v10, v11
	;; [unrolled: 1-line block ×3, first 2 shown]
	s_delay_alu instid0(VALU_DEP_2) | instskip(SKIP_2) | instid1(VALU_DEP_1)
	v_dual_fmac_f32 v9, -0.5, v90 :: v_dual_sub_f32 v90, v121, v123
	v_fmac_f32_e32 v3, -0.5, v91
	v_sub_f32_e32 v91, v137, v94
	v_fmamk_f32 v98, v91, 0x3f5db3d7, v3
	v_fmac_f32_e32 v3, 0xbf5db3d7, v91
	v_fmamk_f32 v91, v55, 0x3f5db3d7, v16
	v_fmac_f32_e32 v16, 0xbf5db3d7, v55
	v_add_f32_e32 v55, v10, v11
	s_delay_alu instid0(VALU_DEP_3) | instskip(NEXT) | instid1(VALU_DEP_3)
	v_dual_fmamk_f32 v11, v90, 0xbf5db3d7, v9 :: v_dual_mul_f32 v102, 0.5, v91
	v_mul_f32_e32 v100, 0xbf5db3d7, v16
	v_mul_f32_e32 v16, -0.5, v16
	s_delay_alu instid0(VALU_DEP_3) | instskip(NEXT) | instid1(VALU_DEP_1)
	v_dual_fmac_f32 v102, 0x3f5db3d7, v11 :: v_dual_fmac_f32 v9, 0x3f5db3d7, v90
	v_fmac_f32_e32 v100, -0.5, v9
	s_delay_alu instid0(VALU_DEP_3)
	v_fmac_f32_e32 v16, 0x3f5db3d7, v9
	v_mul_f32_e32 v99, 0xbf5db3d7, v91
	v_add_nc_u32_e32 v9, 0x1400, v6
	v_add_nc_u32_e32 v6, 0x1800, v6
	v_add_f32_e32 v92, v2, v100
	v_add_f32_e32 v93, v3, v16
	v_dual_sub_f32 v3, v3, v16 :: v_dual_add_nc_u32 v16, 0x2000, v5
	v_sub_f32_e32 v94, v95, v55
	v_dual_sub_f32 v2, v2, v100 :: v_dual_fmac_f32 v99, 0.5, v11
	ds_store_2addr_b64 v9, v[41:42], v[43:44] offset0:80 offset1:140
	ds_store_2addr_b64 v6, v[45:46], v[47:48] offset0:72 offset1:132
	;; [unrolled: 1-line block ×4, first 2 shown]
	v_add_nc_u32_e32 v5, 0x2800, v5
	v_lshl_add_u32 v6, v7, 3, 0
	v_add_nc_u32_e32 v7, 0x2800, v8
	v_add_nc_u32_e32 v8, 0x3000, v8
	v_add_f32_e32 v10, v95, v55
	v_dual_add_f32 v90, v96, v99 :: v_dual_add_f32 v11, v97, v101
	v_add_f32_e32 v91, v98, v102
	ds_store_2addr_b64 v5, v[76:77], v[78:79] offset0:40 offset1:100
	v_add_nc_u32_e32 v5, 0x3800, v6
	v_dual_sub_f32 v95, v97, v101 :: v_dual_sub_f32 v96, v96, v99
	v_sub_f32_e32 v97, v98, v102
	ds_store_2addr_b64 v7, v[0:1], v[80:81] offset0:160 offset1:220
	v_add_nc_u32_e32 v0, 0x3c00, v6
	ds_store_2addr_b64 v16, v[72:73], v[74:75] offset0:176 offset1:236
	ds_store_2addr_b64 v8, v[82:83], v[84:85] offset0:24 offset1:84
	;; [unrolled: 1-line block ×6, first 2 shown]
	global_wb scope:SCOPE_SE
	s_wait_dscnt 0x0
	s_barrier_signal -1
	s_barrier_wait -1
	global_inv scope:SCOPE_SE
	global_load_b128 v[5:8], v4, s[8:9] offset:2800
	v_mul_u32_u24_e32 v0, 5, v15
	s_delay_alu instid0(VALU_DEP_1)
	v_lshlrev_b32_e32 v0, 3, v0
	s_clause 0x9
	global_load_b128 v[15:18], v0, s[8:9] offset:2800
	global_load_b128 v[19:22], v4, s[8:9] offset:2816
	;; [unrolled: 1-line block ×3, first 2 shown]
	global_load_b64 v[130:131], v4, s[8:9] offset:2832
	global_load_b64 v[132:133], v0, s[8:9] offset:2832
	global_load_b128 v[27:30], v0, s[8:9] offset:5200
	global_load_b128 v[31:34], v0, s[8:9] offset:5216
	global_load_b64 v[134:135], v0, s[8:9] offset:5232
	global_load_b128 v[35:38], v0, s[8:9] offset:7600
	global_load_b128 v[39:42], v0, s[8:9] offset:7616
	v_add_nc_u32_e32 v1, 0x1c20, v0
	s_clause 0x2
	global_load_b64 v[136:137], v0, s[8:9] offset:7632
	global_load_b128 v[43:46], v1, s[8:9] offset:2800
	global_load_b128 v[47:50], v1, s[8:9] offset:2816
	v_add_nc_u32_e32 v0, 0x2580, v0
	s_clause 0x3
	global_load_b64 v[138:139], v1, s[8:9] offset:2832
	global_load_b128 v[51:54], v0, s[8:9] offset:2800
	global_load_b128 v[70:73], v0, s[8:9] offset:2816
	global_load_b64 v[140:141], v0, s[8:9] offset:2832
	ds_load_2addr_b64 v[74:77], v67 offset0:104 offset1:164
	ds_load_2addr_b64 v[78:81], v13 offset0:80 offset1:140
	ds_load_2addr_b64 v[82:85], v62 offset1:60
	ds_load_2addr_b64 v[86:89], v68 offset0:56 offset1:116
	ds_load_2addr_b64 v[90:93], v63 offset0:160 offset1:220
	;; [unrolled: 1-line block ×12, first 2 shown]
	s_wait_loadcnt_dscnt 0x110e
	v_mul_f32_e32 v55, v6, v75
	v_mul_f32_e32 v4, v6, v74
	s_wait_dscnt 0xd
	v_mul_f32_e32 v6, v8, v78
	s_wait_loadcnt 0x10
	v_mul_f32_e32 v142, v77, v16
	v_dual_fmac_f32 v55, v5, v74 :: v_dual_mul_f32 v74, v8, v79
	v_mul_f32_e32 v8, v76, v16
	s_delay_alu instid0(VALU_DEP_3)
	v_fmac_f32_e32 v142, v76, v15
	s_wait_loadcnt_dscnt 0xf0a
	v_mul_f32_e32 v16, v90, v22
	v_fma_f32 v75, v5, v75, -v4
	v_fmac_f32_e32 v74, v7, v78
	v_fma_f32 v78, v7, v79, -v6
	v_mul_f32_e32 v79, v87, v20
	v_fma_f32 v76, v77, v15, -v8
	v_dual_mul_f32 v8, v80, v18 :: v_dual_mul_f32 v15, v86, v20
	s_delay_alu instid0(VALU_DEP_3)
	v_dual_mul_f32 v20, v91, v22 :: v_dual_fmac_f32 v79, v86, v19
	s_wait_loadcnt 0xe
	v_mul_f32_e32 v22, v89, v24
	v_mul_f32_e32 v77, v81, v18
	v_fma_f32 v19, v87, v19, -v15
	s_wait_loadcnt_dscnt 0xd09
	v_dual_mul_f32 v15, v88, v24 :: v_dual_mul_f32 v24, v95, v131
	v_fmac_f32_e32 v22, v88, v23
	v_dual_fmac_f32 v77, v80, v17 :: v_dual_mul_f32 v86, v93, v26
	v_fma_f32 v80, v81, v17, -v8
	v_dual_mul_f32 v81, v94, v131 :: v_dual_mul_f32 v26, v92, v26
	v_fmac_f32_e32 v24, v94, v130
	v_fma_f32 v23, v89, v23, -v15
	s_wait_loadcnt 0xc
	v_mul_f32_e32 v87, v97, v133
	s_wait_loadcnt_dscnt 0xb07
	v_dual_fmac_f32 v86, v92, v25 :: v_dual_mul_f32 v89, v103, v28
	v_fma_f32 v25, v93, v25, -v26
	v_mul_f32_e32 v26, v102, v28
	v_fmac_f32_e32 v20, v90, v21
	s_delay_alu instid0(VALU_DEP_4)
	v_dual_mul_f32 v88, v96, v133 :: v_dual_fmac_f32 v89, v102, v27
	s_wait_loadcnt_dscnt 0x903
	v_mul_f32_e32 v94, v119, v135
	v_fma_f32 v90, v103, v27, -v26
	v_mul_f32_e32 v27, v114, v34
	v_fma_f32 v81, v95, v130, -v81
	v_fmac_f32_e32 v87, v96, v132
	v_fma_f32 v28, v97, v132, -v88
	s_wait_loadcnt 0x8
	v_dual_mul_f32 v88, v107, v30 :: v_dual_mul_f32 v95, v105, v36
	v_fmac_f32_e32 v94, v118, v134
	v_mul_f32_e32 v26, v110, v32
	ds_load_2addr_b64 v[4:7], v63 offset0:40 offset1:100
	ds_load_2addr_b64 v[8:11], v64 offset0:144 offset1:204
	v_dual_fmac_f32 v95, v104, v35 :: v_dual_fmac_f32 v88, v106, v29
	v_mul_f32_e32 v93, v115, v34
	v_fma_f32 v34, v111, v31, -v26
	v_mul_f32_e32 v26, v118, v135
	v_fma_f32 v21, v91, v21, -v16
	ds_load_2addr_b64 v[15:18], v14 offset0:120 offset1:180
	v_fmac_f32_e32 v93, v114, v33
	v_fma_f32 v33, v115, v33, -v27
	v_mul_f32_e32 v27, v104, v36
	v_fma_f32 v36, v119, v134, -v26
	v_mul_f32_e32 v26, v108, v38
	v_dual_mul_f32 v30, v106, v30 :: v_dual_mul_f32 v91, v111, v32
	s_delay_alu instid0(VALU_DEP_4)
	v_fma_f32 v97, v105, v35, -v27
	s_wait_loadcnt 0x7
	v_mul_f32_e32 v102, v113, v40
	v_fma_f32 v103, v109, v37, -v26
	v_mul_f32_e32 v26, v116, v42
	v_fma_f32 v92, v107, v29, -v30
	v_dual_mul_f32 v27, v112, v40 :: v_dual_mul_f32 v104, v117, v42
	s_wait_loadcnt_dscnt 0x401
	v_mul_f32_e32 v114, v9, v50
	v_fma_f32 v107, v117, v41, -v26
	v_mul_f32_e32 v26, v122, v44
	v_fma_f32 v105, v113, v39, -v27
	v_mul_f32_e32 v27, v120, v137
	s_wait_loadcnt 0x2
	v_dual_fmac_f32 v102, v112, v39 :: v_dual_mul_f32 v119, v129, v54
	v_fma_f32 v111, v123, v43, -v26
	v_mul_f32_e32 v112, v5, v48
	v_mul_f32_e32 v26, v4, v48
	v_dual_fmac_f32 v114, v8, v49 :: v_dual_fmac_f32 v91, v110, v31
	v_mul_f32_e32 v96, v109, v38
	s_delay_alu instid0(VALU_DEP_4)
	v_fmac_f32_e32 v112, v4, v47
	v_mul_f32_e32 v4, v8, v50
	v_fma_f32 v115, v5, v47, -v26
	s_wait_dscnt 0x0
	v_dual_mul_f32 v5, v15, v139 :: v_dual_mul_f32 v8, v124, v52
	v_mul_f32_e32 v106, v121, v137
	v_fmac_f32_e32 v96, v108, v37
	v_fmac_f32_e32 v104, v116, v41
	s_delay_alu instid0(VALU_DEP_4)
	v_fma_f32 v118, v16, v138, -v5
	v_fma_f32 v5, v125, v51, -v8
	s_wait_loadcnt 0x1
	v_mul_f32_e32 v8, v6, v71
	v_dual_mul_f32 v108, v123, v44 :: v_dual_fmac_f32 v119, v128, v53
	v_mul_f32_e32 v116, v16, v139
	v_fma_f32 v117, v9, v49, -v4
	v_mul_f32_e32 v9, v128, v54
	v_fmac_f32_e32 v106, v120, v136
	v_mul_f32_e32 v120, v7, v71
	v_fma_f32 v123, v7, v70, -v8
	v_add_f32_e32 v8, v82, v74
	v_fma_f32 v109, v121, v136, -v27
	v_fmac_f32_e32 v108, v122, v43
	v_fma_f32 v121, v129, v53, -v9
	v_add_f32_e32 v9, v75, v19
	v_dual_fmac_f32 v116, v15, v138 :: v_dual_add_f32 v15, v8, v20
	v_fmac_f32_e32 v120, v6, v70
	v_mul_f32_e32 v6, v10, v73
	v_mul_f32_e32 v4, v125, v52
	s_wait_loadcnt 0x0
	v_dual_mul_f32 v110, v127, v46 :: v_dual_mul_f32 v7, v17, v141
	v_mul_f32_e32 v27, v126, v46
	v_fma_f32 v125, v11, v72, -v6
	v_add_f32_e32 v6, v74, v20
	v_fmac_f32_e32 v4, v124, v51
	v_mul_f32_e32 v124, v18, v141
	v_add_f32_e32 v8, v83, v78
	v_fma_f32 v113, v127, v45, -v27
	v_fma_f32 v16, -0.5, v6, v82
	v_sub_f32_e32 v6, v78, v21
	v_fmac_f32_e32 v124, v17, v140
	v_add_f32_e32 v27, v9, v81
	v_add_f32_e32 v43, v89, v91
	global_wb scope:SCOPE_SE
	v_fmamk_f32 v17, v6, 0xbf5db3d7, v16
	v_fmac_f32_e32 v16, 0x3f5db3d7, v6
	v_add_f32_e32 v6, v19, v81
	v_fmac_f32_e32 v110, v126, v45
	v_fma_f32 v126, v18, v140, -v7
	v_add_f32_e32 v7, v78, v21
	s_delay_alu instid0(VALU_DEP_4) | instskip(SKIP_2) | instid1(VALU_DEP_4)
	v_dual_add_f32 v18, v8, v21 :: v_dual_fmac_f32 v75, -0.5, v6
	v_sub_f32_e32 v6, v79, v24
	v_mul_f32_e32 v122, v11, v73
	v_fma_f32 v26, -0.5, v7, v83
	v_sub_f32_e32 v7, v74, v20
	v_add_f32_e32 v8, v79, v24
	v_add_f32_e32 v43, v43, v94
	s_barrier_signal -1
	s_barrier_wait -1
	v_fmamk_f32 v20, v7, 0x3f5db3d7, v26
	v_fmac_f32_e32 v26, 0xbf5db3d7, v7
	v_fmamk_f32 v7, v6, 0x3f5db3d7, v75
	v_fmac_f32_e32 v75, 0xbf5db3d7, v6
	global_inv scope:SCOPE_SE
	v_mul_f32_e32 v21, 0xbf5db3d7, v7
	v_mul_f32_e32 v29, 0.5, v7
	v_add_f32_e32 v7, v18, v27
	v_fmac_f32_e32 v122, v10, v72
	v_dual_add_f32 v10, v55, v79 :: v_dual_fmac_f32 v55, -0.5, v8
	v_sub_f32_e32 v8, v19, v81
	s_delay_alu instid0(VALU_DEP_2) | instskip(SKIP_1) | instid1(VALU_DEP_3)
	v_dual_mul_f32 v30, -0.5, v75 :: v_dual_add_f32 v19, v10, v24
	v_mul_f32_e32 v24, 0xbf5db3d7, v75
	v_fmamk_f32 v10, v8, 0xbf5db3d7, v55
	s_delay_alu instid0(VALU_DEP_3) | instskip(SKIP_1) | instid1(VALU_DEP_2)
	v_dual_fmac_f32 v55, 0x3f5db3d7, v8 :: v_dual_add_f32 v6, v15, v19
	v_sub_f32_e32 v15, v15, v19
	v_dual_fmac_f32 v21, 0.5, v10 :: v_dual_fmac_f32 v24, -0.5, v55
	v_dual_fmac_f32 v29, 0x3f5db3d7, v10 :: v_dual_fmac_f32 v30, 0x3f5db3d7, v55
	s_delay_alu instid0(VALU_DEP_2) | instskip(SKIP_2) | instid1(VALU_DEP_4)
	v_add_f32_e32 v10, v16, v24
	v_sub_f32_e32 v19, v16, v24
	v_add_f32_e32 v24, v84, v77
	v_dual_sub_f32 v16, v18, v27 :: v_dual_add_f32 v9, v20, v29
	v_dual_add_f32 v11, v26, v30 :: v_dual_sub_f32 v18, v20, v29
	s_delay_alu instid0(VALU_DEP_3)
	v_dual_add_f32 v27, v24, v86 :: v_dual_add_f32 v8, v17, v21
	v_sub_f32_e32 v17, v17, v21
	v_add_f32_e32 v21, v77, v86
	v_sub_f32_e32 v20, v26, v30
	v_add_f32_e32 v24, v85, v80
	v_add_f32_e32 v26, v80, v25
	s_delay_alu instid0(VALU_DEP_4) | instskip(SKIP_1) | instid1(VALU_DEP_4)
	v_fma_f32 v30, -0.5, v21, v84
	v_sub_f32_e32 v21, v80, v25
	v_add_f32_e32 v32, v24, v25
	v_add_f32_e32 v24, v22, v87
	;; [unrolled: 1-line block ×3, first 2 shown]
	v_fmac_f32_e32 v85, -0.5, v26
	v_fmamk_f32 v29, v21, 0xbf5db3d7, v30
	v_dual_fmac_f32 v30, 0x3f5db3d7, v21 :: v_dual_add_f32 v21, v23, v28
	v_dual_sub_f32 v23, v23, v28 :: v_dual_sub_f32 v26, v77, v86
	v_add_f32_e32 v28, v25, v28
	s_delay_alu instid0(VALU_DEP_3) | instskip(SKIP_1) | instid1(VALU_DEP_4)
	v_dual_fmac_f32 v76, -0.5, v21 :: v_dual_sub_f32 v21, v22, v87
	v_add_f32_e32 v22, v142, v22
	v_dual_fmac_f32 v142, -0.5, v24 :: v_dual_fmamk_f32 v35, v26, 0x3f5db3d7, v85
	v_fmac_f32_e32 v85, 0xbf5db3d7, v26
	s_delay_alu instid0(VALU_DEP_4) | instskip(NEXT) | instid1(VALU_DEP_4)
	v_fmamk_f32 v24, v21, 0x3f5db3d7, v76
	v_dual_fmac_f32 v76, 0xbf5db3d7, v21 :: v_dual_add_f32 v31, v22, v87
	s_delay_alu instid0(VALU_DEP_4) | instskip(NEXT) | instid1(VALU_DEP_3)
	v_fmamk_f32 v22, v23, 0xbf5db3d7, v142
	v_dual_fmac_f32 v142, 0x3f5db3d7, v23 :: v_dual_mul_f32 v39, 0.5, v24
	s_delay_alu instid0(VALU_DEP_3)
	v_mul_f32_e32 v38, 0xbf5db3d7, v76
	v_mul_f32_e32 v37, 0xbf5db3d7, v24
	v_add_f32_e32 v21, v27, v31
	v_sub_f32_e32 v27, v27, v31
	v_fmac_f32_e32 v39, 0x3f5db3d7, v22
	v_fmac_f32_e32 v38, -0.5, v142
	s_delay_alu instid0(VALU_DEP_2) | instskip(NEXT) | instid1(VALU_DEP_2)
	v_dual_fmac_f32 v37, 0.5, v22 :: v_dual_add_f32 v24, v35, v39
	v_add_f32_e32 v25, v30, v38
	v_dual_sub_f32 v31, v30, v38 :: v_dual_sub_f32 v30, v35, v39
	v_add_f32_e32 v35, v98, v88
	s_delay_alu instid0(VALU_DEP_4)
	v_add_f32_e32 v23, v29, v37
	v_sub_f32_e32 v29, v29, v37
	v_add_f32_e32 v37, v88, v93
	v_add_f32_e32 v38, v92, v33
	v_dual_add_f32 v39, v35, v93 :: v_dual_mul_f32 v40, -0.5, v76
	v_add_f32_e32 v35, v99, v92
	s_delay_alu instid0(VALU_DEP_3) | instskip(SKIP_1) | instid1(VALU_DEP_4)
	v_fma_f32 v44, -0.5, v38, v99
	v_sub_f32_e32 v38, v88, v93
	v_fmac_f32_e32 v40, 0x3f5db3d7, v142
	s_delay_alu instid0(VALU_DEP_4) | instskip(SKIP_2) | instid1(VALU_DEP_4)
	v_dual_add_f32 v42, v35, v33 :: v_dual_add_f32 v35, v90, v34
	v_add_f32_e32 v22, v32, v28
	v_sub_f32_e32 v28, v32, v28
	v_add_f32_e32 v26, v85, v40
	v_sub_f32_e32 v32, v85, v40
	v_fma_f32 v40, -0.5, v37, v98
	v_sub_f32_e32 v37, v92, v33
	v_add_f32_e32 v33, v91, v94
	v_dual_add_f32 v48, v35, v36 :: v_dual_fmamk_f32 v45, v38, 0x3f5db3d7, v44
	s_delay_alu instid0(VALU_DEP_3) | instskip(SKIP_1) | instid1(VALU_DEP_4)
	v_fmamk_f32 v41, v37, 0xbf5db3d7, v40
	v_dual_fmac_f32 v40, 0x3f5db3d7, v37 :: v_dual_add_f32 v37, v34, v36
	v_fmac_f32_e32 v89, -0.5, v33
	s_delay_alu instid0(VALU_DEP_2) | instskip(SKIP_1) | instid1(VALU_DEP_1)
	v_dual_sub_f32 v33, v34, v36 :: v_dual_fmac_f32 v90, -0.5, v37
	v_sub_f32_e32 v37, v91, v94
	v_fmamk_f32 v34, v37, 0x3f5db3d7, v90
	s_delay_alu instid0(VALU_DEP_3) | instskip(SKIP_1) | instid1(VALU_DEP_3)
	v_dual_fmac_f32 v90, 0xbf5db3d7, v37 :: v_dual_fmamk_f32 v37, v33, 0xbf5db3d7, v89
	v_fmac_f32_e32 v89, 0x3f5db3d7, v33
	v_dual_add_f32 v33, v39, v43 :: v_dual_mul_f32 v46, 0xbf5db3d7, v34
	s_delay_alu instid0(VALU_DEP_3) | instskip(SKIP_1) | instid1(VALU_DEP_3)
	v_mul_f32_e32 v47, 0xbf5db3d7, v90
	v_mul_f32_e32 v49, 0.5, v34
	v_dual_sub_f32 v39, v39, v43 :: v_dual_fmac_f32 v46, 0.5, v37
	s_delay_alu instid0(VALU_DEP_3) | instskip(NEXT) | instid1(VALU_DEP_3)
	v_fmac_f32_e32 v47, -0.5, v89
	v_fmac_f32_e32 v49, 0x3f5db3d7, v37
	s_delay_alu instid0(VALU_DEP_3) | instskip(SKIP_1) | instid1(VALU_DEP_3)
	v_add_f32_e32 v35, v41, v46
	v_dual_sub_f32 v41, v41, v46 :: v_dual_add_f32 v46, v96, v104
	v_dual_add_f32 v37, v40, v47 :: v_dual_add_f32 v36, v45, v49
	v_sub_f32_e32 v43, v40, v47
	v_add_f32_e32 v47, v103, v107
	s_delay_alu instid0(VALU_DEP_4) | instskip(SKIP_1) | instid1(VALU_DEP_1)
	v_fma_f32 v52, -0.5, v46, v100
	v_sub_f32_e32 v46, v103, v107
	v_fmamk_f32 v53, v46, 0xbf5db3d7, v52
	v_add_f32_e32 v34, v42, v48
	v_sub_f32_e32 v40, v42, v48
	v_dual_sub_f32 v42, v45, v49 :: v_dual_add_f32 v45, v100, v96
	v_add_f32_e32 v49, v95, v102
	v_fmac_f32_e32 v52, 0x3f5db3d7, v46
	v_add_f32_e32 v48, v97, v105
	s_delay_alu instid0(VALU_DEP_4) | instskip(SKIP_3) | instid1(VALU_DEP_3)
	v_add_f32_e32 v51, v45, v104
	v_add_f32_e32 v45, v101, v103
	;; [unrolled: 1-line block ×3, first 2 shown]
	v_dual_add_f32 v46, v105, v109 :: v_dual_fmac_f32 v101, -0.5, v47
	v_dual_sub_f32 v47, v96, v104 :: v_dual_add_f32 v54, v45, v107
	v_add_f32_e32 v45, v102, v106
	s_delay_alu instid0(VALU_DEP_3) | instskip(SKIP_2) | instid1(VALU_DEP_4)
	v_fmac_f32_e32 v97, -0.5, v46
	v_mul_f32_e32 v50, -0.5, v90
	v_sub_f32_e32 v46, v102, v106
	v_dual_fmac_f32 v44, 0xbf5db3d7, v38 :: v_dual_fmac_f32 v95, -0.5, v45
	v_fmamk_f32 v55, v47, 0x3f5db3d7, v101
	v_sub_f32_e32 v45, v105, v109
	v_fmac_f32_e32 v101, 0xbf5db3d7, v47
	v_dual_fmac_f32 v50, 0x3f5db3d7, v89 :: v_dual_fmamk_f32 v47, v46, 0x3f5db3d7, v97
	v_fmac_f32_e32 v97, 0xbf5db3d7, v46
	s_delay_alu instid0(VALU_DEP_4) | instskip(NEXT) | instid1(VALU_DEP_3)
	v_fmamk_f32 v46, v45, 0xbf5db3d7, v95
	v_dual_fmac_f32 v95, 0x3f5db3d7, v45 :: v_dual_add_f32 v38, v44, v50
	s_delay_alu instid0(VALU_DEP_4) | instskip(NEXT) | instid1(VALU_DEP_4)
	v_mul_f32_e32 v71, 0xbf5db3d7, v47
	v_dual_mul_f32 v75, -0.5, v97 :: v_dual_sub_f32 v44, v44, v50
	v_dual_mul_f32 v74, 0.5, v47 :: v_dual_add_f32 v73, v48, v109
	s_delay_alu instid0(VALU_DEP_3) | instskip(NEXT) | instid1(VALU_DEP_3)
	v_fmac_f32_e32 v71, 0.5, v46
	v_fmac_f32_e32 v75, 0x3f5db3d7, v95
	v_dual_mul_f32 v72, 0xbf5db3d7, v97 :: v_dual_add_f32 v45, v51, v70
	v_sub_f32_e32 v51, v51, v70
	s_delay_alu instid0(VALU_DEP_4) | instskip(SKIP_3) | instid1(VALU_DEP_1)
	v_add_f32_e32 v47, v53, v71
	v_sub_f32_e32 v53, v53, v71
	v_sub_f32_e32 v71, v101, v75
	v_fmac_f32_e32 v72, -0.5, v95
	v_add_f32_e32 v49, v52, v72
	v_sub_f32_e32 v70, v52, v72
	v_add_f32_e32 v72, v110, v114
	v_sub_f32_e32 v52, v54, v73
	s_delay_alu instid0(VALU_DEP_2) | instskip(SKIP_4) | instid1(VALU_DEP_3)
	v_fma_f32 v77, -0.5, v72, v0
	v_add_f32_e32 v72, v1, v113
	v_fmac_f32_e32 v74, 0x3f5db3d7, v46
	v_add_f32_e32 v46, v54, v73
	v_add_f32_e32 v73, v113, v117
	v_dual_add_f32 v79, v72, v117 :: v_dual_add_f32 v48, v55, v74
	v_sub_f32_e32 v54, v55, v74
	s_delay_alu instid0(VALU_DEP_3) | instskip(SKIP_3) | instid1(VALU_DEP_2)
	v_fma_f32 v81, -0.5, v73, v1
	v_sub_f32_e32 v1, v110, v114
	v_add_f32_e32 v73, v111, v115
	v_dual_add_f32 v50, v101, v75 :: v_dual_add_f32 v55, v0, v110
	v_add_f32_e32 v84, v73, v118
	s_delay_alu instid0(VALU_DEP_4) | instskip(SKIP_1) | instid1(VALU_DEP_4)
	v_fmamk_f32 v82, v1, 0x3f5db3d7, v81
	v_dual_fmac_f32 v81, 0xbf5db3d7, v1 :: v_dual_add_f32 v72, v112, v116
	v_dual_add_f32 v74, v108, v112 :: v_dual_add_f32 v55, v55, v114
	s_delay_alu instid0(VALU_DEP_2) | instskip(SKIP_1) | instid1(VALU_DEP_3)
	v_fmac_f32_e32 v108, -0.5, v72
	v_sub_f32_e32 v72, v115, v118
	v_add_f32_e32 v76, v74, v116
	s_delay_alu instid0(VALU_DEP_2) | instskip(SKIP_2) | instid1(VALU_DEP_1)
	v_fmamk_f32 v74, v72, 0xbf5db3d7, v108
	v_fmac_f32_e32 v108, 0x3f5db3d7, v72
	v_sub_f32_e32 v0, v113, v117
	v_fmamk_f32 v78, v0, 0xbf5db3d7, v77
	v_dual_fmac_f32 v77, 0x3f5db3d7, v0 :: v_dual_add_f32 v0, v115, v118
	s_delay_alu instid0(VALU_DEP_1) | instskip(SKIP_1) | instid1(VALU_DEP_1)
	v_fmac_f32_e32 v111, -0.5, v0
	v_sub_f32_e32 v0, v112, v116
	v_fmamk_f32 v1, v0, 0x3f5db3d7, v111
	v_fmac_f32_e32 v111, 0xbf5db3d7, v0
	v_add_f32_e32 v0, v55, v76
	v_sub_f32_e32 v76, v55, v76
	s_delay_alu instid0(VALU_DEP_4) | instskip(NEXT) | instid1(VALU_DEP_4)
	v_dual_add_f32 v55, v119, v122 :: v_dual_mul_f32 v80, 0xbf5db3d7, v1
	v_mul_f32_e32 v83, 0xbf5db3d7, v111
	v_mul_f32_e32 v85, 0.5, v1
	v_dual_add_f32 v1, v79, v84 :: v_dual_mul_f32 v86, -0.5, v111
	s_delay_alu instid0(VALU_DEP_3) | instskip(NEXT) | instid1(VALU_DEP_1)
	v_dual_fmac_f32 v80, 0.5, v74 :: v_dual_fmac_f32 v83, -0.5, v108
	v_dual_fmac_f32 v85, 0x3f5db3d7, v74 :: v_dual_add_f32 v72, v78, v80
	s_delay_alu instid0(VALU_DEP_2) | instskip(SKIP_2) | instid1(VALU_DEP_4)
	v_add_f32_e32 v74, v77, v83
	v_sub_f32_e32 v78, v78, v80
	v_dual_sub_f32 v80, v77, v83 :: v_dual_sub_f32 v77, v79, v84
	v_add_f32_e32 v73, v82, v85
	v_sub_f32_e32 v79, v82, v85
	v_dual_add_f32 v85, v4, v120 :: v_dual_add_f32 v82, v2, v119
	v_fma_f32 v2, -0.5, v55, v2
	v_sub_f32_e32 v55, v121, v125
	v_add_f32_e32 v83, v121, v125
	s_delay_alu instid0(VALU_DEP_2) | instskip(SKIP_1) | instid1(VALU_DEP_1)
	v_dual_add_f32 v84, v5, v123 :: v_dual_fmamk_f32 v87, v55, 0xbf5db3d7, v2
	v_dual_fmac_f32 v2, 0x3f5db3d7, v55 :: v_dual_add_f32 v55, v123, v126
	v_dual_add_f32 v92, v84, v126 :: v_dual_fmac_f32 v5, -0.5, v55
	v_sub_f32_e32 v55, v120, v124
	v_fmac_f32_e32 v86, 0x3f5db3d7, v108
	s_delay_alu instid0(VALU_DEP_1) | instskip(SKIP_4) | instid1(VALU_DEP_1)
	v_add_f32_e32 v75, v81, v86
	v_sub_f32_e32 v81, v81, v86
	v_add_f32_e32 v86, v82, v122
	v_dual_add_f32 v82, v3, v121 :: v_dual_fmac_f32 v3, -0.5, v83
	v_sub_f32_e32 v83, v119, v122
	v_dual_add_f32 v89, v82, v125 :: v_dual_fmamk_f32 v90, v83, 0x3f5db3d7, v3
	v_fmac_f32_e32 v3, 0xbf5db3d7, v83
	v_fmamk_f32 v83, v55, 0x3f5db3d7, v5
	v_fmac_f32_e32 v5, 0xbf5db3d7, v55
	s_delay_alu instid0(VALU_DEP_2) | instskip(SKIP_2) | instid1(VALU_DEP_4)
	v_dual_add_f32 v55, v85, v124 :: v_dual_mul_f32 v88, 0xbf5db3d7, v83
	v_mul_f32_e32 v93, 0.5, v83
	v_add_f32_e32 v83, v89, v92
	v_dual_add_f32 v82, v120, v124 :: v_dual_mul_f32 v91, 0xbf5db3d7, v5
	v_mul_f32_e32 v94, -0.5, v5
	s_delay_alu instid0(VALU_DEP_2) | instskip(SKIP_1) | instid1(VALU_DEP_1)
	v_fmac_f32_e32 v4, -0.5, v82
	v_sub_f32_e32 v82, v123, v126
	v_fmamk_f32 v85, v82, 0xbf5db3d7, v4
	v_fmac_f32_e32 v4, 0x3f5db3d7, v82
	v_add_f32_e32 v82, v86, v55
	v_sub_f32_e32 v86, v86, v55
	s_delay_alu instid0(VALU_DEP_3) | instskip(SKIP_1) | instid1(VALU_DEP_2)
	v_dual_fmac_f32 v88, 0.5, v85 :: v_dual_fmac_f32 v91, -0.5, v4
	v_dual_fmac_f32 v93, 0x3f5db3d7, v85 :: v_dual_fmac_f32 v94, 0x3f5db3d7, v4
	v_add_f32_e32 v4, v87, v88
	s_delay_alu instid0(VALU_DEP_3) | instskip(NEXT) | instid1(VALU_DEP_3)
	v_add_f32_e32 v84, v2, v91
	v_add_f32_e32 v5, v90, v93
	s_delay_alu instid0(VALU_DEP_4)
	v_add_f32_e32 v85, v3, v94
	v_sub_f32_e32 v88, v87, v88
	v_dual_sub_f32 v2, v2, v91 :: v_dual_sub_f32 v87, v89, v92
	v_sub_f32_e32 v89, v90, v93
	v_sub_f32_e32 v3, v3, v94
	ds_store_2addr_b64 v62, v[6:7], v[21:22] offset1:60
	ds_store_2addr_b64 v67, v[8:9], v[23:24] offset0:104 offset1:164
	ds_store_2addr_b64 v13, v[10:11], v[25:26] offset0:80 offset1:140
	;; [unrolled: 1-line block ×17, first 2 shown]
	global_wb scope:SCOPE_SE
	s_wait_dscnt 0x0
	s_barrier_signal -1
	s_barrier_wait -1
	global_inv scope:SCOPE_SE
	s_and_saveexec_b32 s0, vcc_lo
	s_cbranch_execz .LBB0_23
; %bb.22:
	v_mul_lo_u32 v0, s3, v60
	v_mul_lo_u32 v1, s2, v61
	v_mad_co_u64_u32 v[4:5], null, s2, v60, 0
	v_dual_mov_b32 v57, 0 :: v_dual_add_nc_u32 v10, 60, v56
	v_lshl_add_u32 v28, v56, 3, 0
	v_lshlrev_b64_e32 v[8:9], 3, v[58:59]
	s_delay_alu instid0(VALU_DEP_3)
	v_dual_mov_b32 v11, v57 :: v_dual_add_nc_u32 v12, 0x78, v56
	v_add3_u32 v5, v5, v1, v0
	ds_load_2addr_b64 v[0:3], v28 offset1:60
	v_lshlrev_b64_e32 v[16:17], 3, v[56:57]
	v_mov_b32_e32 v13, v57
	v_lshlrev_b64_e32 v[10:11], 3, v[10:11]
	v_lshlrev_b64_e32 v[14:15], 3, v[4:5]
	ds_load_2addr_b64 v[4:7], v28 offset0:120 offset1:180
	v_add_nc_u32_e32 v20, 0x3000, v28
	v_add_nc_u32_e32 v24, 0x3800, v28
	;; [unrolled: 1-line block ×4, first 2 shown]
	v_add_co_u32 v14, vcc_lo, s6, v14
	s_wait_alu 0xfffd
	v_add_co_ci_u32_e32 v15, vcc_lo, s7, v15, vcc_lo
	v_mov_b32_e32 v19, v57
	s_delay_alu instid0(VALU_DEP_3)
	v_add_co_u32 v32, vcc_lo, v14, v8
	v_add_nc_u32_e32 v14, 0xb4, v56
	s_wait_alu 0xfffd
	v_add_co_ci_u32_e32 v33, vcc_lo, v15, v9, vcc_lo
	v_mov_b32_e32 v15, v57
	v_lshlrev_b64_e32 v[8:9], 3, v[12:13]
	v_add_co_u32 v12, vcc_lo, v32, v16
	v_add_nc_u32_e32 v16, 0xf0, v56
	s_wait_alu 0xfffd
	v_add_co_ci_u32_e32 v13, vcc_lo, v33, v17, vcc_lo
	v_add_co_u32 v10, vcc_lo, v32, v10
	v_lshlrev_b64_e32 v[14:15], 3, v[14:15]
	s_wait_alu 0xfffd
	v_add_co_ci_u32_e32 v11, vcc_lo, v33, v11, vcc_lo
	v_add_co_u32 v8, vcc_lo, v32, v8
	s_wait_alu 0xfffd
	v_add_co_ci_u32_e32 v9, vcc_lo, v33, v9, vcc_lo
	v_mov_b32_e32 v17, v57
	v_add_co_u32 v14, vcc_lo, v32, v14
	s_wait_alu 0xfffd
	v_add_co_ci_u32_e32 v15, vcc_lo, v33, v15, vcc_lo
	s_wait_dscnt 0x1
	s_clause 0x1
	global_store_b64 v[12:13], v[0:1], off
	global_store_b64 v[10:11], v[2:3], off
	s_wait_dscnt 0x0
	s_clause 0x1
	global_store_b64 v[8:9], v[4:5], off
	global_store_b64 v[14:15], v[6:7], off
	v_lshlrev_b64_e32 v[4:5], 3, v[16:17]
	v_dual_mov_b32 v7, v57 :: v_dual_add_nc_u32 v6, 0x12c, v56
	v_dual_mov_b32 v15, v57 :: v_dual_add_nc_u32 v14, 0x800, v28
	ds_load_2addr_b64 v[0:3], v18 offset0:112 offset1:172
	v_add_co_u32 v10, vcc_lo, v32, v4
	v_dual_mov_b32 v9, v57 :: v_dual_add_nc_u32 v8, 0x168, v56
	s_wait_alu 0xfffd
	v_add_co_ci_u32_e32 v11, vcc_lo, v33, v5, vcc_lo
	v_lshlrev_b64_e32 v[12:13], 3, v[6:7]
	ds_load_2addr_b64 v[4:7], v14 offset0:104 offset1:164
	v_add_nc_u32_e32 v14, 0x1a4, v56
	v_lshlrev_b64_e32 v[8:9], 3, v[8:9]
	v_add_nc_u32_e32 v16, 0x1e0, v56
	v_add_nc_u32_e32 v18, 0xc00, v28
	v_add_co_u32 v12, vcc_lo, v32, v12
	v_lshlrev_b64_e32 v[14:15], 3, v[14:15]
	s_wait_alu 0xfffd
	v_add_co_ci_u32_e32 v13, vcc_lo, v33, v13, vcc_lo
	v_add_co_u32 v8, vcc_lo, v32, v8
	s_wait_alu 0xfffd
	v_add_co_ci_u32_e32 v9, vcc_lo, v33, v9, vcc_lo
	v_add_co_u32 v14, vcc_lo, v32, v14
	s_wait_alu 0xfffd
	v_add_co_ci_u32_e32 v15, vcc_lo, v33, v15, vcc_lo
	s_wait_dscnt 0x1
	s_clause 0x1
	global_store_b64 v[10:11], v[0:1], off
	global_store_b64 v[12:13], v[2:3], off
	s_wait_dscnt 0x0
	s_clause 0x1
	global_store_b64 v[8:9], v[4:5], off
	global_store_b64 v[14:15], v[6:7], off
	v_mov_b32_e32 v15, v57
	v_mov_b32_e32 v9, v57
	v_lshlrev_b64_e32 v[4:5], 3, v[16:17]
	v_dual_mov_b32 v7, v57 :: v_dual_add_nc_u32 v6, 0x21c, v56
	v_add_nc_u32_e32 v14, 0x1000, v28
	ds_load_2addr_b64 v[0:3], v18 offset0:96 offset1:156
	v_add_nc_u32_e32 v8, 0x258, v56
	v_add_co_u32 v10, vcc_lo, v32, v4
	s_wait_alu 0xfffd
	v_add_co_ci_u32_e32 v11, vcc_lo, v33, v5, vcc_lo
	v_lshlrev_b64_e32 v[12:13], 3, v[6:7]
	ds_load_2addr_b64 v[4:7], v14 offset0:88 offset1:148
	v_add_nc_u32_e32 v14, 0x294, v56
	v_lshlrev_b64_e32 v[8:9], 3, v[8:9]
	v_add_nc_u32_e32 v16, 0x2d0, v56
	v_add_nc_u32_e32 v18, 0x1400, v28
	v_add_co_u32 v12, vcc_lo, v32, v12
	v_lshlrev_b64_e32 v[14:15], 3, v[14:15]
	s_wait_alu 0xfffd
	v_add_co_ci_u32_e32 v13, vcc_lo, v33, v13, vcc_lo
	v_add_co_u32 v8, vcc_lo, v32, v8
	s_wait_alu 0xfffd
	v_add_co_ci_u32_e32 v9, vcc_lo, v33, v9, vcc_lo
	v_add_co_u32 v14, vcc_lo, v32, v14
	s_wait_alu 0xfffd
	v_add_co_ci_u32_e32 v15, vcc_lo, v33, v15, vcc_lo
	s_wait_dscnt 0x1
	s_clause 0x1
	global_store_b64 v[10:11], v[0:1], off
	global_store_b64 v[12:13], v[2:3], off
	s_wait_dscnt 0x0
	s_clause 0x1
	global_store_b64 v[8:9], v[4:5], off
	global_store_b64 v[14:15], v[6:7], off
	v_lshlrev_b64_e32 v[4:5], 3, v[16:17]
	ds_load_2addr_b64 v[0:3], v18 offset0:80 offset1:140
	v_dual_mov_b32 v7, v57 :: v_dual_add_nc_u32 v6, 0x30c, v56
	v_add_nc_u32_e32 v18, 0x1800, v28
	v_add_nc_u32_e32 v8, 0x348, v56
	v_add_co_u32 v10, vcc_lo, v32, v4
	v_mov_b32_e32 v9, v57
	s_wait_alu 0xfffd
	v_add_co_ci_u32_e32 v11, vcc_lo, v33, v5, vcc_lo
	v_lshlrev_b64_e32 v[12:13], 3, v[6:7]
	ds_load_2addr_b64 v[4:7], v18 offset0:72 offset1:132
	v_dual_mov_b32 v15, v57 :: v_dual_add_nc_u32 v14, 0x384, v56
	v_lshlrev_b64_e32 v[8:9], 3, v[8:9]
	v_add_nc_u32_e32 v16, 0x3c0, v56
	v_add_co_u32 v12, vcc_lo, v32, v12
	s_delay_alu instid0(VALU_DEP_4)
	v_lshlrev_b64_e32 v[14:15], 3, v[14:15]
	s_wait_alu 0xfffd
	v_add_co_ci_u32_e32 v13, vcc_lo, v33, v13, vcc_lo
	v_add_co_u32 v8, vcc_lo, v32, v8
	s_wait_alu 0xfffd
	v_add_co_ci_u32_e32 v9, vcc_lo, v33, v9, vcc_lo
	v_add_co_u32 v14, vcc_lo, v32, v14
	s_wait_alu 0xfffd
	v_add_co_ci_u32_e32 v15, vcc_lo, v33, v15, vcc_lo
	s_wait_dscnt 0x1
	s_clause 0x1
	global_store_b64 v[10:11], v[0:1], off
	global_store_b64 v[12:13], v[2:3], off
	s_wait_dscnt 0x0
	s_clause 0x1
	global_store_b64 v[8:9], v[4:5], off
	global_store_b64 v[14:15], v[6:7], off
	v_lshlrev_b64_e32 v[4:5], 3, v[16:17]
	ds_load_2addr_b64 v[0:3], v18 offset0:192 offset1:252
	v_dual_mov_b32 v7, v57 :: v_dual_add_nc_u32 v6, 0x3fc, v56
	v_add_nc_u32_e32 v18, 0x2000, v28
	v_add_nc_u32_e32 v8, 0x438, v56
	v_add_co_u32 v10, vcc_lo, v32, v4
	v_mov_b32_e32 v9, v57
	s_wait_alu 0xfffd
	v_add_co_ci_u32_e32 v11, vcc_lo, v33, v5, vcc_lo
	v_lshlrev_b64_e32 v[12:13], 3, v[6:7]
	ds_load_2addr_b64 v[4:7], v18 offset0:56 offset1:116
	v_dual_mov_b32 v15, v57 :: v_dual_add_nc_u32 v14, 0x474, v56
	v_lshlrev_b64_e32 v[8:9], 3, v[8:9]
	v_add_nc_u32_e32 v16, 0x4b0, v56
	v_add_co_u32 v12, vcc_lo, v32, v12
	s_delay_alu instid0(VALU_DEP_4)
	v_lshlrev_b64_e32 v[14:15], 3, v[14:15]
	s_wait_alu 0xfffd
	v_add_co_ci_u32_e32 v13, vcc_lo, v33, v13, vcc_lo
	v_add_co_u32 v8, vcc_lo, v32, v8
	s_wait_alu 0xfffd
	v_add_co_ci_u32_e32 v9, vcc_lo, v33, v9, vcc_lo
	v_add_co_u32 v14, vcc_lo, v32, v14
	s_wait_alu 0xfffd
	v_add_co_ci_u32_e32 v15, vcc_lo, v33, v15, vcc_lo
	s_wait_dscnt 0x1
	s_clause 0x1
	global_store_b64 v[10:11], v[0:1], off
	global_store_b64 v[12:13], v[2:3], off
	s_wait_dscnt 0x0
	s_clause 0x1
	global_store_b64 v[8:9], v[4:5], off
	global_store_b64 v[14:15], v[6:7], off
	v_lshlrev_b64_e32 v[4:5], 3, v[16:17]
	ds_load_2addr_b64 v[0:3], v18 offset0:176 offset1:236
	v_dual_mov_b32 v7, v57 :: v_dual_add_nc_u32 v6, 0x4ec, v56
	v_add_nc_u32_e32 v18, 0x2800, v28
	v_dual_mov_b32 v27, v57 :: v_dual_add_nc_u32 v8, 0x528, v56
	v_add_co_u32 v10, vcc_lo, v32, v4
	v_mov_b32_e32 v9, v57
	s_wait_alu 0xfffd
	v_add_co_ci_u32_e32 v11, vcc_lo, v33, v5, vcc_lo
	v_lshlrev_b64_e32 v[12:13], 3, v[6:7]
	ds_load_2addr_b64 v[4:7], v18 offset0:40 offset1:100
	v_dual_mov_b32 v15, v57 :: v_dual_add_nc_u32 v14, 0x564, v56
	v_lshlrev_b64_e32 v[8:9], 3, v[8:9]
	v_add_nc_u32_e32 v16, 0x5a0, v56
	v_add_co_u32 v12, vcc_lo, v32, v12
	s_delay_alu instid0(VALU_DEP_4)
	v_lshlrev_b64_e32 v[14:15], 3, v[14:15]
	s_wait_alu 0xfffd
	v_add_co_ci_u32_e32 v13, vcc_lo, v33, v13, vcc_lo
	v_add_co_u32 v8, vcc_lo, v32, v8
	s_wait_alu 0xfffd
	v_add_co_ci_u32_e32 v9, vcc_lo, v33, v9, vcc_lo
	v_add_co_u32 v14, vcc_lo, v32, v14
	s_wait_alu 0xfffd
	v_add_co_ci_u32_e32 v15, vcc_lo, v33, v15, vcc_lo
	s_wait_dscnt 0x1
	s_clause 0x1
	global_store_b64 v[10:11], v[0:1], off
	global_store_b64 v[12:13], v[2:3], off
	s_wait_dscnt 0x0
	s_clause 0x1
	global_store_b64 v[8:9], v[4:5], off
	global_store_b64 v[14:15], v[6:7], off
	v_lshlrev_b64_e32 v[4:5], 3, v[16:17]
	v_dual_mov_b32 v7, v57 :: v_dual_add_nc_u32 v6, 0x5dc, v56
	ds_load_2addr_b64 v[0:3], v18 offset0:160 offset1:220
	v_dual_mov_b32 v9, v57 :: v_dual_add_nc_u32 v8, 0x618, v56
	v_add_co_u32 v10, vcc_lo, v32, v4
	s_wait_alu 0xfffd
	v_add_co_ci_u32_e32 v11, vcc_lo, v33, v5, vcc_lo
	v_lshlrev_b64_e32 v[12:13], 3, v[6:7]
	ds_load_2addr_b64 v[4:7], v20 offset0:24 offset1:84
	v_dual_mov_b32 v15, v57 :: v_dual_add_nc_u32 v14, 0x654, v56
	v_lshlrev_b64_e32 v[8:9], 3, v[8:9]
	v_add_nc_u32_e32 v16, 0x690, v56
	v_add_co_u32 v12, vcc_lo, v32, v12
	s_delay_alu instid0(VALU_DEP_4)
	v_lshlrev_b64_e32 v[14:15], 3, v[14:15]
	s_wait_alu 0xfffd
	v_add_co_ci_u32_e32 v13, vcc_lo, v33, v13, vcc_lo
	v_add_co_u32 v8, vcc_lo, v32, v8
	s_wait_alu 0xfffd
	v_add_co_ci_u32_e32 v9, vcc_lo, v33, v9, vcc_lo
	v_add_co_u32 v14, vcc_lo, v32, v14
	s_wait_alu 0xfffd
	v_add_co_ci_u32_e32 v15, vcc_lo, v33, v15, vcc_lo
	v_add_nc_u32_e32 v18, 0x6cc, v56
	s_wait_dscnt 0x1
	s_clause 0x1
	global_store_b64 v[10:11], v[0:1], off
	global_store_b64 v[12:13], v[2:3], off
	s_wait_dscnt 0x0
	s_clause 0x1
	global_store_b64 v[8:9], v[4:5], off
	global_store_b64 v[14:15], v[6:7], off
	v_lshlrev_b64_e32 v[4:5], 3, v[16:17]
	v_dual_mov_b32 v9, v57 :: v_dual_add_nc_u32 v8, 0x708, v56
	v_lshlrev_b64_e32 v[6:7], 3, v[18:19]
	v_dual_mov_b32 v11, v57 :: v_dual_add_nc_u32 v10, 0x744, v56
	s_delay_alu instid0(VALU_DEP_4) | instskip(NEXT) | instid1(VALU_DEP_4)
	v_add_co_u32 v16, vcc_lo, v32, v4
	v_lshlrev_b64_e32 v[8:9], 3, v[8:9]
	s_wait_alu 0xfffd
	v_add_co_ci_u32_e32 v17, vcc_lo, v33, v5, vcc_lo
	v_add_co_u32 v18, vcc_lo, v32, v6
	s_wait_alu 0xfffd
	v_add_co_ci_u32_e32 v19, vcc_lo, v33, v7, vcc_lo
	ds_load_2addr_b64 v[0:3], v20 offset0:144 offset1:204
	v_add_co_u32 v20, vcc_lo, v32, v8
	s_wait_alu 0xfffd
	v_add_co_ci_u32_e32 v21, vcc_lo, v33, v9, vcc_lo
	v_lshlrev_b64_e32 v[8:9], 3, v[10:11]
	v_dual_mov_b32 v13, v57 :: v_dual_add_nc_u32 v12, 0x780, v56
	v_dual_mov_b32 v15, v57 :: v_dual_add_nc_u32 v14, 0x7bc, v56
	ds_load_2addr_b64 v[4:7], v24 offset0:8 offset1:68
	v_add_co_u32 v22, vcc_lo, v32, v8
	v_lshlrev_b64_e32 v[12:13], 3, v[12:13]
	s_wait_alu 0xfffd
	v_add_co_ci_u32_e32 v23, vcc_lo, v33, v9, vcc_lo
	ds_load_2addr_b64 v[8:11], v24 offset0:128 offset1:188
	v_lshlrev_b64_e32 v[24:25], 3, v[14:15]
	v_add_nc_u32_e32 v14, 0x3c00, v28
	v_add_co_u32 v28, vcc_lo, v32, v12
	s_wait_alu 0xfffd
	v_add_co_ci_u32_e32 v29, vcc_lo, v33, v13, vcc_lo
	ds_load_2addr_b64 v[12:15], v14 offset0:120 offset1:180
	v_add_nc_u32_e32 v56, 0x834, v56
	v_lshlrev_b64_e32 v[26:27], 3, v[26:27]
	v_add_co_u32 v24, vcc_lo, v32, v24
	s_wait_alu 0xfffd
	v_add_co_ci_u32_e32 v25, vcc_lo, v33, v25, vcc_lo
	v_lshlrev_b64_e32 v[30:31], 3, v[56:57]
	s_delay_alu instid0(VALU_DEP_4) | instskip(SKIP_2) | instid1(VALU_DEP_3)
	v_add_co_u32 v26, vcc_lo, v32, v26
	s_wait_alu 0xfffd
	v_add_co_ci_u32_e32 v27, vcc_lo, v33, v27, vcc_lo
	v_add_co_u32 v30, vcc_lo, v32, v30
	s_wait_alu 0xfffd
	v_add_co_ci_u32_e32 v31, vcc_lo, v33, v31, vcc_lo
	s_wait_dscnt 0x3
	s_clause 0x1
	global_store_b64 v[16:17], v[0:1], off
	global_store_b64 v[18:19], v[2:3], off
	s_wait_dscnt 0x2
	s_clause 0x1
	global_store_b64 v[20:21], v[4:5], off
	global_store_b64 v[22:23], v[6:7], off
	;; [unrolled: 4-line block ×4, first 2 shown]
.LBB0_23:
	s_nop 0
	s_sendmsg sendmsg(MSG_DEALLOC_VGPRS)
	s_endpgm
	.section	.rodata,"a",@progbits
	.p2align	6, 0x0
	.amdhsa_kernel fft_rtc_back_len2160_factors_10_6_6_6_wgs_60_tpt_60_halfLds_sp_op_CI_CI_unitstride_sbrr_C2R_dirReg
		.amdhsa_group_segment_fixed_size 0
		.amdhsa_private_segment_fixed_size 0
		.amdhsa_kernarg_size 104
		.amdhsa_user_sgpr_count 2
		.amdhsa_user_sgpr_dispatch_ptr 0
		.amdhsa_user_sgpr_queue_ptr 0
		.amdhsa_user_sgpr_kernarg_segment_ptr 1
		.amdhsa_user_sgpr_dispatch_id 0
		.amdhsa_user_sgpr_private_segment_size 0
		.amdhsa_wavefront_size32 1
		.amdhsa_uses_dynamic_stack 0
		.amdhsa_enable_private_segment 0
		.amdhsa_system_sgpr_workgroup_id_x 1
		.amdhsa_system_sgpr_workgroup_id_y 0
		.amdhsa_system_sgpr_workgroup_id_z 0
		.amdhsa_system_sgpr_workgroup_info 0
		.amdhsa_system_vgpr_workitem_id 0
		.amdhsa_next_free_vgpr 145
		.amdhsa_next_free_sgpr 39
		.amdhsa_reserve_vcc 1
		.amdhsa_float_round_mode_32 0
		.amdhsa_float_round_mode_16_64 0
		.amdhsa_float_denorm_mode_32 3
		.amdhsa_float_denorm_mode_16_64 3
		.amdhsa_fp16_overflow 0
		.amdhsa_workgroup_processor_mode 1
		.amdhsa_memory_ordered 1
		.amdhsa_forward_progress 0
		.amdhsa_round_robin_scheduling 0
		.amdhsa_exception_fp_ieee_invalid_op 0
		.amdhsa_exception_fp_denorm_src 0
		.amdhsa_exception_fp_ieee_div_zero 0
		.amdhsa_exception_fp_ieee_overflow 0
		.amdhsa_exception_fp_ieee_underflow 0
		.amdhsa_exception_fp_ieee_inexact 0
		.amdhsa_exception_int_div_zero 0
	.end_amdhsa_kernel
	.text
.Lfunc_end0:
	.size	fft_rtc_back_len2160_factors_10_6_6_6_wgs_60_tpt_60_halfLds_sp_op_CI_CI_unitstride_sbrr_C2R_dirReg, .Lfunc_end0-fft_rtc_back_len2160_factors_10_6_6_6_wgs_60_tpt_60_halfLds_sp_op_CI_CI_unitstride_sbrr_C2R_dirReg
                                        ; -- End function
	.section	.AMDGPU.csdata,"",@progbits
; Kernel info:
; codeLenInByte = 20740
; NumSgprs: 41
; NumVgprs: 145
; ScratchSize: 0
; MemoryBound: 0
; FloatMode: 240
; IeeeMode: 1
; LDSByteSize: 0 bytes/workgroup (compile time only)
; SGPRBlocks: 5
; VGPRBlocks: 18
; NumSGPRsForWavesPerEU: 41
; NumVGPRsForWavesPerEU: 145
; Occupancy: 9
; WaveLimiterHint : 1
; COMPUTE_PGM_RSRC2:SCRATCH_EN: 0
; COMPUTE_PGM_RSRC2:USER_SGPR: 2
; COMPUTE_PGM_RSRC2:TRAP_HANDLER: 0
; COMPUTE_PGM_RSRC2:TGID_X_EN: 1
; COMPUTE_PGM_RSRC2:TGID_Y_EN: 0
; COMPUTE_PGM_RSRC2:TGID_Z_EN: 0
; COMPUTE_PGM_RSRC2:TIDIG_COMP_CNT: 0
	.text
	.p2alignl 7, 3214868480
	.fill 96, 4, 3214868480
	.type	__hip_cuid_378375202e06d9f9,@object ; @__hip_cuid_378375202e06d9f9
	.section	.bss,"aw",@nobits
	.globl	__hip_cuid_378375202e06d9f9
__hip_cuid_378375202e06d9f9:
	.byte	0                               ; 0x0
	.size	__hip_cuid_378375202e06d9f9, 1

	.ident	"AMD clang version 19.0.0git (https://github.com/RadeonOpenCompute/llvm-project roc-6.4.0 25133 c7fe45cf4b819c5991fe208aaa96edf142730f1d)"
	.section	".note.GNU-stack","",@progbits
	.addrsig
	.addrsig_sym __hip_cuid_378375202e06d9f9
	.amdgpu_metadata
---
amdhsa.kernels:
  - .args:
      - .actual_access:  read_only
        .address_space:  global
        .offset:         0
        .size:           8
        .value_kind:     global_buffer
      - .offset:         8
        .size:           8
        .value_kind:     by_value
      - .actual_access:  read_only
        .address_space:  global
        .offset:         16
        .size:           8
        .value_kind:     global_buffer
      - .actual_access:  read_only
        .address_space:  global
        .offset:         24
        .size:           8
        .value_kind:     global_buffer
      - .actual_access:  read_only
        .address_space:  global
        .offset:         32
        .size:           8
        .value_kind:     global_buffer
      - .offset:         40
        .size:           8
        .value_kind:     by_value
      - .actual_access:  read_only
        .address_space:  global
        .offset:         48
        .size:           8
        .value_kind:     global_buffer
      - .actual_access:  read_only
        .address_space:  global
        .offset:         56
        .size:           8
        .value_kind:     global_buffer
      - .offset:         64
        .size:           4
        .value_kind:     by_value
      - .actual_access:  read_only
        .address_space:  global
        .offset:         72
        .size:           8
        .value_kind:     global_buffer
      - .actual_access:  read_only
        .address_space:  global
        .offset:         80
        .size:           8
        .value_kind:     global_buffer
      - .actual_access:  read_only
        .address_space:  global
        .offset:         88
        .size:           8
        .value_kind:     global_buffer
      - .actual_access:  write_only
        .address_space:  global
        .offset:         96
        .size:           8
        .value_kind:     global_buffer
    .group_segment_fixed_size: 0
    .kernarg_segment_align: 8
    .kernarg_segment_size: 104
    .language:       OpenCL C
    .language_version:
      - 2
      - 0
    .max_flat_workgroup_size: 60
    .name:           fft_rtc_back_len2160_factors_10_6_6_6_wgs_60_tpt_60_halfLds_sp_op_CI_CI_unitstride_sbrr_C2R_dirReg
    .private_segment_fixed_size: 0
    .sgpr_count:     41
    .sgpr_spill_count: 0
    .symbol:         fft_rtc_back_len2160_factors_10_6_6_6_wgs_60_tpt_60_halfLds_sp_op_CI_CI_unitstride_sbrr_C2R_dirReg.kd
    .uniform_work_group_size: 1
    .uses_dynamic_stack: false
    .vgpr_count:     145
    .vgpr_spill_count: 0
    .wavefront_size: 32
    .workgroup_processor_mode: 1
amdhsa.target:   amdgcn-amd-amdhsa--gfx1201
amdhsa.version:
  - 1
  - 2
...

	.end_amdgpu_metadata
